;; amdgpu-corpus repo=ROCm/rocFFT kind=compiled arch=gfx1201 opt=O3
	.text
	.amdgcn_target "amdgcn-amd-amdhsa--gfx1201"
	.amdhsa_code_object_version 6
	.protected	bluestein_single_fwd_len1440_dim1_sp_op_CI_CI ; -- Begin function bluestein_single_fwd_len1440_dim1_sp_op_CI_CI
	.globl	bluestein_single_fwd_len1440_dim1_sp_op_CI_CI
	.p2align	8
	.type	bluestein_single_fwd_len1440_dim1_sp_op_CI_CI,@function
bluestein_single_fwd_len1440_dim1_sp_op_CI_CI: ; @bluestein_single_fwd_len1440_dim1_sp_op_CI_CI
; %bb.0:
	s_load_b128 s[12:15], s[0:1], 0x28
	v_mul_u32_u24_e32 v1, 0x2d9, v0
	s_mov_b32 s2, exec_lo
	v_mov_b32_e32 v119, 0
	s_delay_alu instid0(VALU_DEP_2) | instskip(NEXT) | instid1(VALU_DEP_1)
	v_lshrrev_b32_e32 v1, 16, v1
	v_add_nc_u32_e32 v118, ttmp9, v1
	s_wait_kmcnt 0x0
	s_delay_alu instid0(VALU_DEP_1)
	v_cmpx_gt_u64_e64 s[12:13], v[118:119]
	s_cbranch_execz .LBB0_31
; %bb.1:
	s_clause 0x1
	s_load_b128 s[4:7], s[0:1], 0x18
	s_load_b64 s[12:13], s[0:1], 0x0
	v_mul_lo_u16 v1, 0x5a, v1
	s_delay_alu instid0(VALU_DEP_1) | instskip(NEXT) | instid1(VALU_DEP_1)
	v_sub_nc_u16 v30, v0, v1
	v_and_b32_e32 v119, 0xffff, v30
	s_delay_alu instid0(VALU_DEP_1)
	v_or_b32_e32 v150, 0x480, v119
	s_wait_kmcnt 0x0
	s_load_b128 s[8:11], s[4:5], 0x0
	s_wait_kmcnt 0x0
	v_mad_co_u64_u32 v[0:1], null, s10, v118, 0
	v_mad_co_u64_u32 v[2:3], null, s8, v119, 0
	s_mul_u64 s[2:3], s[8:9], 0x90
	s_delay_alu instid0(SALU_CYCLE_1) | instskip(SKIP_1) | instid1(SALU_CYCLE_1)
	s_lshl_b64 s[16:17], s[2:3], 3
	s_mov_b32 s2, 0
	v_mov_b32_e32 v120, s2
	s_delay_alu instid0(VALU_DEP_2) | instskip(SKIP_1) | instid1(VALU_DEP_1)
	v_mad_co_u64_u32 v[4:5], null, s11, v118, v[1:2]
	s_load_b64 s[10:11], s[0:1], 0x38
	v_mov_b32_e32 v1, v4
	v_mad_co_u64_u32 v[5:6], null, s9, v119, v[3:4]
	v_mad_co_u64_u32 v[6:7], null, s8, v150, 0
	s_delay_alu instid0(VALU_DEP_3) | instskip(NEXT) | instid1(VALU_DEP_1)
	v_lshlrev_b64_e32 v[0:1], 3, v[0:1]
	v_add_co_u32 v14, vcc_lo, s14, v0
	s_delay_alu instid0(VALU_DEP_3) | instskip(SKIP_1) | instid1(VALU_DEP_4)
	v_dual_mov_b32 v0, v7 :: v_dual_lshlrev_b32 v149, 3, v119
	v_mov_b32_e32 v3, v5
	v_add_co_ci_u32_e32 v15, vcc_lo, s15, v1, vcc_lo
	s_clause 0x1
	global_load_b64 v[127:128], v149, s[12:13]
	global_load_b64 v[125:126], v149, s[12:13] offset:1152
	v_lshlrev_b64_e32 v[2:3], 3, v[2:3]
	global_load_b64 v[121:122], v149, s[12:13] offset:9216
	v_add_co_u32 v116, s2, s12, v149
	s_wait_alu 0xf1ff
	v_add_co_ci_u32_e64 v117, null, s13, 0, s2
	v_add_co_u32 v1, vcc_lo, v14, v2
	s_wait_alu 0xfffd
	v_add_co_ci_u32_e32 v2, vcc_lo, v15, v3, vcc_lo
	s_delay_alu instid0(VALU_DEP_2) | instskip(SKIP_2) | instid1(VALU_DEP_3)
	v_mad_co_u64_u32 v[3:4], null, s9, v150, v[0:1]
	v_add_co_u32 v4, vcc_lo, v1, s16
	s_wait_alu 0xfffd
	v_add_co_ci_u32_e32 v5, vcc_lo, s17, v2, vcc_lo
	global_load_b64 v[16:17], v[1:2], off
	v_add_co_u32 v8, vcc_lo, v4, s16
	global_load_b64 v[20:21], v[4:5], off
	s_wait_alu 0xfffd
	v_add_co_ci_u32_e32 v9, vcc_lo, s17, v5, vcc_lo
	v_mov_b32_e32 v7, v3
	v_add_co_u32 v10, vcc_lo, v8, s16
	s_wait_alu 0xfffd
	s_delay_alu instid0(VALU_DEP_3) | instskip(NEXT) | instid1(VALU_DEP_3)
	v_add_co_ci_u32_e32 v11, vcc_lo, s17, v9, vcc_lo
	v_lshlrev_b64_e32 v[6:7], 3, v[6:7]
	s_delay_alu instid0(VALU_DEP_3) | instskip(SKIP_1) | instid1(VALU_DEP_3)
	v_add_co_u32 v12, vcc_lo, v10, s16
	s_wait_alu 0xfffd
	v_add_co_ci_u32_e32 v13, vcc_lo, s17, v11, vcc_lo
	s_delay_alu instid0(VALU_DEP_3)
	v_add_co_u32 v6, vcc_lo, v14, v6
	s_wait_alu 0xfffd
	v_add_co_ci_u32_e32 v7, vcc_lo, v15, v7, vcc_lo
	v_add_co_u32 v14, vcc_lo, v12, s16
	s_wait_alu 0xfffd
	v_add_co_ci_u32_e32 v15, vcc_lo, s17, v13, vcc_lo
	global_load_b64 v[6:7], v[6:7], off
	v_add_co_u32 v2, vcc_lo, v14, s16
	s_wait_alu 0xfffd
	v_add_co_ci_u32_e32 v3, vcc_lo, s17, v15, vcc_lo
	global_load_b64 v[8:9], v[8:9], off
	s_clause 0x1
	global_load_b64 v[133:134], v149, s[12:13] offset:2304
	global_load_b64 v[131:132], v149, s[12:13] offset:3456
	s_clause 0x1
	global_load_b64 v[10:11], v[10:11], off
	global_load_b64 v[12:13], v[12:13], off
	global_load_b64 v[137:138], v149, s[12:13] offset:4608
	v_add_co_u32 v18, vcc_lo, v2, s16
	s_wait_alu 0xfffd
	v_add_co_ci_u32_e32 v19, vcc_lo, s17, v3, vcc_lo
	global_load_b64 v[14:15], v[14:15], off
	global_load_b64 v[139:140], v149, s[12:13] offset:5760
	global_load_b64 v[22:23], v[2:3], off
	global_load_b64 v[135:136], v149, s[12:13] offset:6912
	v_cmp_gt_u16_e32 vcc_lo, 54, v30
	v_mad_co_u64_u32 v[0:1], null, 0x900, s8, v[18:19]
	s_delay_alu instid0(VALU_DEP_1) | instskip(NEXT) | instid1(VALU_DEP_1)
	v_mad_co_u64_u32 v[4:5], null, 0x900, s9, v[1:2]
	v_dual_mov_b32 v1, v4 :: v_dual_add_nc_u32 v2, 0x1800, v149
	v_add_nc_u32_e32 v4, 0x800, v149
	s_wait_loadcnt 0xc
	v_dual_mul_f32 v26, v17, v128 :: v_dual_add_nc_u32 v3, 0x1000, v149
	s_wait_loadcnt 0xb
	v_mul_f32_e32 v31, v20, v126
	s_delay_alu instid0(VALU_DEP_2)
	v_fmac_f32_e32 v26, v16, v127
	s_wait_loadcnt 0xa
	v_mul_f32_e32 v28, v7, v122
	global_load_b64 v[129:130], v149, s[12:13] offset:8064
	global_load_b64 v[18:19], v[18:19], off
	global_load_b64 v[123:124], v149, s[12:13] offset:10368
	global_load_b64 v[24:25], v[0:1], off
	v_mul_f32_e32 v27, v16, v128
	s_wait_loadcnt 0xa
	v_dual_mul_f32 v29, v6, v122 :: v_dual_mul_f32 v16, v11, v132
	v_dual_mul_f32 v5, v21, v126 :: v_dual_fmac_f32 v28, v6, v121
	s_delay_alu instid0(VALU_DEP_3) | instskip(SKIP_1) | instid1(VALU_DEP_3)
	v_fma_f32 v27, v17, v127, -v27
	v_fma_f32 v6, v21, v125, -v31
	v_dual_fmac_f32 v16, v10, v131 :: v_dual_fmac_f32 v5, v20, v125
	s_wait_loadcnt 0x4
	v_mul_f32_e32 v20, v23, v136
	s_load_b128 s[4:7], s[6:7], 0x0
	v_fma_f32 v29, v7, v121, -v29
	v_mul_f32_e32 v7, v9, v134
	v_mul_f32_e32 v17, v8, v134
	ds_store_2addr_b64 v149, v[26:27], v[5:6] offset1:144
	v_mul_f32_e32 v5, v10, v132
	v_dual_fmac_f32 v20, v22, v135 :: v_dual_fmac_f32 v7, v8, v133
	v_fma_f32 v8, v9, v133, -v17
	v_mul_f32_e32 v9, v13, v138
	s_delay_alu instid0(VALU_DEP_4) | instskip(SKIP_2) | instid1(VALU_DEP_4)
	v_fma_f32 v17, v11, v131, -v5
	v_dual_mul_f32 v5, v12, v138 :: v_dual_mul_f32 v6, v14, v140
	v_mul_f32_e32 v11, v15, v140
	v_fmac_f32_e32 v9, v12, v137
	s_delay_alu instid0(VALU_DEP_3) | instskip(SKIP_3) | instid1(VALU_DEP_3)
	v_fma_f32 v10, v13, v137, -v5
	v_mul_f32_e32 v5, v22, v136
	v_fma_f32 v12, v15, v139, -v6
	v_fmac_f32_e32 v11, v14, v139
	v_fma_f32 v21, v23, v135, -v5
	s_wait_loadcnt 0x2
	v_dual_mul_f32 v6, v18, v130 :: v_dual_add_nc_u32 v5, 0x2400, v149
	s_wait_loadcnt 0x0
	v_dual_mul_f32 v13, v19, v130 :: v_dual_mul_f32 v22, v25, v124
	v_mul_f32_e32 v15, v24, v124
	s_delay_alu instid0(VALU_DEP_3) | instskip(NEXT) | instid1(VALU_DEP_3)
	v_fma_f32 v14, v19, v129, -v6
	v_dual_fmac_f32 v13, v18, v129 :: v_dual_fmac_f32 v22, v24, v123
	s_delay_alu instid0(VALU_DEP_3)
	v_fma_f32 v23, v25, v123, -v15
	ds_store_2addr_b64 v4, v[7:8], v[16:17] offset0:32 offset1:176
	ds_store_2addr_b64 v3, v[9:10], v[11:12] offset0:64 offset1:208
	;; [unrolled: 1-line block ×3, first 2 shown]
	ds_store_2addr_b64 v5, v[28:29], v[22:23] offset1:144
	s_and_saveexec_b32 s3, vcc_lo
	s_cbranch_execz .LBB0_3
; %bb.2:
	v_mad_co_u64_u32 v[0:1], null, 0xffffda50, s8, v[0:1]
	s_mul_i32 s2, s9, 0xffffda50
	s_clause 0x3
	global_load_b64 v[6:7], v[116:117], off offset:720
	global_load_b64 v[8:9], v[116:117], off offset:1872
	;; [unrolled: 1-line block ×4, first 2 shown]
	s_wait_alu 0xfffe
	s_sub_co_i32 s2, s2, s8
	global_load_b64 v[16:17], v[116:117], off offset:5328
	s_wait_alu 0xfffe
	v_add_nc_u32_e32 v1, s2, v1
	v_add_co_u32 v14, s2, v0, s16
	s_wait_alu 0xf1ff
	s_delay_alu instid0(VALU_DEP_2) | instskip(NEXT) | instid1(VALU_DEP_2)
	v_add_co_ci_u32_e64 v15, s2, s17, v1, s2
	v_add_co_u32 v18, s2, v14, s16
	global_load_b64 v[0:1], v[0:1], off
	s_wait_alu 0xf1ff
	v_add_co_ci_u32_e64 v19, s2, s17, v15, s2
	v_add_co_u32 v20, s2, v18, s16
	global_load_b64 v[14:15], v[14:15], off
	s_wait_alu 0xf1ff
	;; [unrolled: 4-line block ×5, first 2 shown]
	v_add_co_ci_u32_e64 v27, s2, s17, v25, s2
	v_add_co_u32 v28, s2, v26, s16
	v_add_nc_u32_e32 v46, 0xa00, v149
	s_wait_alu 0xf1ff
	s_delay_alu instid0(VALU_DEP_3)
	v_add_co_ci_u32_e64 v29, s2, s17, v27, s2
	s_clause 0x1
	global_load_b64 v[30:31], v[116:117], off offset:6480
	global_load_b64 v[32:33], v[116:117], off offset:7632
	global_load_b64 v[24:25], v[24:25], off
	global_load_b64 v[26:27], v[26:27], off
	;; [unrolled: 1-line block ×3, first 2 shown]
	v_add_co_u32 v28, s2, v28, s16
	s_wait_alu 0xf1ff
	v_add_co_ci_u32_e64 v29, s2, s17, v29, s2
	global_load_b64 v[36:37], v[116:117], off offset:8784
	v_add_co_u32 v38, s2, v28, s16
	s_wait_alu 0xf1ff
	v_add_co_ci_u32_e64 v39, s2, s17, v29, s2
	global_load_b64 v[28:29], v[28:29], off
	s_clause 0x1
	global_load_b64 v[40:41], v[116:117], off offset:9936
	global_load_b64 v[42:43], v[116:117], off offset:11088
	global_load_b64 v[38:39], v[38:39], off
	s_wait_loadcnt 0xe
	v_dual_mul_f32 v44, v1, v7 :: v_dual_add_nc_u32 v47, 0x1400, v149
	v_mul_f32_e32 v45, v0, v7
	s_delay_alu instid0(VALU_DEP_2) | instskip(NEXT) | instid1(VALU_DEP_2)
	v_fmac_f32_e32 v44, v0, v6
	v_fma_f32 v45, v1, v6, -v45
	s_wait_loadcnt 0xc
	v_mul_f32_e32 v0, v19, v11
	v_mul_f32_e32 v7, v15, v9
	v_mul_f32_e32 v9, v14, v9
	s_wait_loadcnt 0xb
	v_dual_mul_f32 v1, v18, v11 :: v_dual_mul_f32 v6, v20, v13
	v_fmac_f32_e32 v0, v18, v10
	v_dual_fmac_f32 v7, v14, v8 :: v_dual_add_nc_u32 v48, 0x1c00, v149
	s_delay_alu instid0(VALU_DEP_3) | instskip(SKIP_4) | instid1(VALU_DEP_2)
	v_fma_f32 v1, v19, v10, -v1
	s_wait_loadcnt 0xa
	v_mul_f32_e32 v11, v23, v17
	v_fma_f32 v10, v21, v12, -v6
	s_wait_loadcnt 0x7
	v_dual_fmac_f32 v11, v22, v16 :: v_dual_mul_f32 v6, v24, v31
	v_fma_f32 v8, v15, v8, -v9
	v_mul_f32_e32 v9, v21, v13
	v_dual_mul_f32 v14, v22, v17 :: v_dual_mul_f32 v13, v25, v31
	s_wait_loadcnt 0x6
	v_mul_f32_e32 v15, v27, v33
	s_delay_alu instid0(VALU_DEP_3) | instskip(NEXT) | instid1(VALU_DEP_3)
	v_fmac_f32_e32 v9, v20, v12
	v_fma_f32 v12, v23, v16, -v14
	v_dual_mul_f32 v16, v26, v33 :: v_dual_fmac_f32 v13, v24, v30
	s_wait_loadcnt 0x4
	v_mul_f32_e32 v17, v35, v37
	v_fma_f32 v14, v25, v30, -v6
	v_mul_f32_e32 v6, v34, v37
	s_wait_loadcnt 0x2
	v_mul_f32_e32 v19, v29, v41
	s_wait_loadcnt 0x0
	v_dual_mul_f32 v20, v28, v41 :: v_dual_mul_f32 v21, v39, v43
	v_mul_f32_e32 v22, v38, v43
	v_fmac_f32_e32 v15, v26, v32
	v_fma_f32 v16, v27, v32, -v16
	v_fmac_f32_e32 v17, v34, v36
	v_fma_f32 v18, v35, v36, -v6
	;; [unrolled: 2-line block ×4, first 2 shown]
	ds_store_2addr_b64 v149, v[44:45], v[7:8] offset0:90 offset1:234
	ds_store_2addr_b64 v46, v[0:1], v[9:10] offset0:58 offset1:202
	;; [unrolled: 1-line block ×5, first 2 shown]
.LBB0_3:
	s_wait_alu 0xfffe
	s_or_b32 exec_lo, exec_lo, s3
	global_wb scope:SCOPE_SE
	s_wait_dscnt 0x0
	s_wait_kmcnt 0x0
	s_barrier_signal -1
	s_barrier_wait -1
	global_inv scope:SCOPE_SE
	ds_load_2addr_b64 v[12:15], v149 offset1:144
	ds_load_2addr_b64 v[28:31], v4 offset0:32 offset1:176
	ds_load_2addr_b64 v[32:35], v3 offset0:64 offset1:208
	ds_load_2addr_b64 v[36:39], v2 offset0:96 offset1:240
	ds_load_2addr_b64 v[24:27], v5 offset1:144
                                        ; implicit-def: $vgpr6
                                        ; implicit-def: $vgpr0
                                        ; implicit-def: $vgpr8
                                        ; implicit-def: $vgpr18
                                        ; implicit-def: $vgpr22
	s_and_saveexec_b32 s2, vcc_lo
	s_cbranch_execz .LBB0_5
; %bb.4:
	v_add_nc_u32_e32 v0, 0xa00, v149
	v_add_nc_u32_e32 v1, 0x1400, v149
	;; [unrolled: 1-line block ×4, first 2 shown]
	ds_load_2addr_b64 v[20:23], v149 offset0:90 offset1:234
	ds_load_2addr_b64 v[16:19], v0 offset0:58 offset1:202
	;; [unrolled: 1-line block ×5, first 2 shown]
.LBB0_5:
	s_wait_alu 0xfffe
	s_or_b32 exec_lo, exec_lo, s2
	s_wait_dscnt 0x1
	v_dual_add_f32 v40, v32, v36 :: v_dual_sub_f32 v43, v33, v37
	s_wait_dscnt 0x0
	v_dual_add_f32 v41, v12, v28 :: v_dual_sub_f32 v42, v29, v25
	v_add_f32_e32 v46, v28, v24
	s_delay_alu instid0(VALU_DEP_3) | instskip(SKIP_2) | instid1(VALU_DEP_4)
	v_fma_f32 v44, -0.5, v40, v12
	v_dual_sub_f32 v40, v28, v32 :: v_dual_add_f32 v49, v33, v37
	v_sub_f32_e32 v45, v24, v36
	v_fma_f32 v12, -0.5, v46, v12
	s_delay_alu instid0(VALU_DEP_4) | instskip(NEXT) | instid1(VALU_DEP_3)
	v_dual_fmamk_f32 v56, v42, 0x3f737871, v44 :: v_dual_add_f32 v41, v41, v32
	v_dual_fmac_f32 v44, 0xbf737871, v42 :: v_dual_add_f32 v45, v40, v45
	v_sub_f32_e32 v46, v32, v28
	s_delay_alu instid0(VALU_DEP_3) | instskip(SKIP_3) | instid1(VALU_DEP_4)
	v_dual_fmac_f32 v56, 0x3f167918, v43 :: v_dual_add_f32 v41, v41, v36
	v_sub_f32_e32 v32, v32, v36
	v_dual_add_f32 v48, v13, v29 :: v_dual_sub_f32 v47, v36, v24
	v_fmac_f32_e32 v44, 0xbf167918, v43
	v_dual_fmac_f32 v56, 0x3e9e377a, v45 :: v_dual_add_f32 v41, v41, v24
	v_fmamk_f32 v58, v43, 0xbf737871, v12
	s_delay_alu instid0(VALU_DEP_4) | instskip(SKIP_2) | instid1(VALU_DEP_4)
	v_dual_fmac_f32 v12, 0x3f737871, v43 :: v_dual_add_f32 v43, v48, v33
	v_sub_f32_e32 v24, v28, v24
	v_fma_f32 v64, -0.5, v49, v13
	v_fmac_f32_e32 v58, 0x3f167918, v42
	v_fmac_f32_e32 v44, 0x3e9e377a, v45
	v_add_f32_e32 v28, v43, v37
	v_add_f32_e32 v43, v29, v25
	v_dual_sub_f32 v45, v25, v37 :: v_dual_add_f32 v46, v46, v47
	s_load_b64 s[2:3], s[0:1], 0x8
	v_add_co_u32 v157, s0, 0x5a, v119
	s_delay_alu instid0(VALU_DEP_3) | instskip(SKIP_2) | instid1(VALU_DEP_3)
	v_fma_f32 v13, -0.5, v43, v13
	s_wait_alu 0xf1ff
	v_add_co_ci_u32_e64 v40, null, 0, 0, s0
	v_mul_u32_u24_e32 v151, 10, v157
	global_wb scope:SCOPE_SE
	v_fmamk_f32 v43, v32, 0x3f737871, v13
	v_dual_fmac_f32 v13, 0xbf737871, v32 :: v_dual_sub_f32 v36, v29, v33
	v_add_f32_e32 v28, v28, v25
	v_sub_f32_e32 v29, v33, v29
	v_dual_sub_f32 v25, v37, v25 :: v_dual_fmac_f32 v58, 0x3e9e377a, v46
	v_add_f32_e32 v33, v34, v38
	v_dual_fmac_f32 v12, 0xbf167918, v42 :: v_dual_fmac_f32 v43, 0xbf167918, v24
	s_delay_alu instid0(VALU_DEP_3) | instskip(SKIP_1) | instid1(VALU_DEP_3)
	v_dual_fmamk_f32 v42, v24, 0xbf737871, v64 :: v_dual_add_f32 v25, v29, v25
	v_fmac_f32_e32 v64, 0x3f737871, v24
	v_dual_fmac_f32 v12, 0x3e9e377a, v46 :: v_dual_sub_f32 v37, v35, v39
	v_add_f32_e32 v29, v14, v30
	s_delay_alu instid0(VALU_DEP_4) | instskip(SKIP_3) | instid1(VALU_DEP_2)
	v_fmac_f32_e32 v43, 0x3e9e377a, v25
	v_fmac_f32_e32 v42, 0xbf167918, v32
	v_dual_fmac_f32 v13, 0x3f167918, v24 :: v_dual_sub_f32 v46, v26, v38
	v_dual_add_f32 v36, v36, v45 :: v_dual_sub_f32 v45, v30, v34
	v_dual_add_f32 v24, v29, v34 :: v_dual_fmac_f32 v13, 0x3e9e377a, v25
	s_wait_kmcnt 0x0
	s_barrier_signal -1
	s_barrier_wait -1
	v_add_f32_e32 v25, v45, v46
	v_dual_sub_f32 v45, v34, v30 :: v_dual_fmac_f32 v64, 0x3f167918, v32
	v_fma_f32 v32, -0.5, v33, v14
	v_dual_sub_f32 v33, v31, v27 :: v_dual_sub_f32 v46, v38, v26
	v_add_f32_e32 v24, v24, v38
	global_inv scope:SCOPE_SE
	v_sub_f32_e32 v65, v3, v11
	v_fmamk_f32 v29, v33, 0x3f737871, v32
	v_fmac_f32_e32 v32, 0xbf737871, v33
	s_delay_alu instid0(VALU_DEP_2)
	v_fmac_f32_e32 v29, 0x3f167918, v37
	v_fmac_f32_e32 v42, 0x3e9e377a, v36
	;; [unrolled: 1-line block ×3, first 2 shown]
	v_add_f32_e32 v36, v30, v26
	v_fmac_f32_e32 v32, 0xbf167918, v37
	v_fmac_f32_e32 v29, 0x3e9e377a, v25
	s_delay_alu instid0(VALU_DEP_2) | instskip(NEXT) | instid1(VALU_DEP_4)
	v_dual_fmac_f32 v32, 0x3e9e377a, v25 :: v_dual_add_f32 v25, v15, v31
	v_fma_f32 v14, -0.5, v36, v14
	s_delay_alu instid0(VALU_DEP_2) | instskip(NEXT) | instid1(VALU_DEP_2)
	v_add_f32_e32 v25, v25, v35
	v_fmamk_f32 v36, v37, 0xbf737871, v14
	v_dual_fmac_f32 v14, 0x3f737871, v37 :: v_dual_add_f32 v37, v35, v39
	s_delay_alu instid0(VALU_DEP_2) | instskip(NEXT) | instid1(VALU_DEP_2)
	v_dual_add_f32 v25, v25, v39 :: v_dual_fmac_f32 v36, 0x3f167918, v33
	v_dual_fmac_f32 v14, 0xbf167918, v33 :: v_dual_add_f32 v33, v31, v27
	s_delay_alu instid0(VALU_DEP_3) | instskip(SKIP_2) | instid1(VALU_DEP_4)
	v_fma_f32 v37, -0.5, v37, v15
	v_add_f32_e32 v24, v24, v26
	v_sub_f32_e32 v26, v30, v26
	v_dual_sub_f32 v30, v34, v38 :: v_dual_fmac_f32 v15, -0.5, v33
	v_sub_f32_e32 v34, v31, v35
	v_sub_f32_e32 v31, v35, v31
	;; [unrolled: 1-line block ×3, first 2 shown]
	s_delay_alu instid0(VALU_DEP_4) | instskip(SKIP_2) | instid1(VALU_DEP_3)
	v_dual_add_f32 v45, v45, v46 :: v_dual_fmamk_f32 v38, v30, 0x3f737871, v15
	v_fmac_f32_e32 v15, 0xbf737871, v30
	v_sub_f32_e32 v39, v27, v39
	v_dual_add_f32 v31, v31, v35 :: v_dual_fmac_f32 v36, 0x3e9e377a, v45
	v_add_f32_e32 v25, v25, v27
	s_delay_alu instid0(VALU_DEP_1) | instskip(NEXT) | instid1(VALU_DEP_1)
	v_dual_fmac_f32 v15, 0x3f167918, v26 :: v_dual_add_f32 v46, v28, v25
	v_fmac_f32_e32 v15, 0x3e9e377a, v31
	v_fmamk_f32 v33, v26, 0xbf737871, v37
	v_fmac_f32_e32 v38, 0xbf167918, v26
	v_dual_add_f32 v34, v34, v39 :: v_dual_fmac_f32 v37, 0x3f737871, v26
	s_delay_alu instid0(VALU_DEP_2)
	v_dual_sub_f32 v55, v41, v24 :: v_dual_fmac_f32 v38, 0x3e9e377a, v31
	v_mul_f32_e32 v31, 0x3f4f1bbd, v32
	v_fmac_f32_e32 v33, 0xbf167918, v30
	v_fmac_f32_e32 v14, 0x3e9e377a, v45
	;; [unrolled: 1-line block ×3, first 2 shown]
	v_add_f32_e32 v45, v41, v24
	v_sub_f32_e32 v41, v11, v3
	v_fmac_f32_e32 v33, 0x3e9e377a, v34
	v_mul_f32_e32 v30, 0x3e9e377a, v14
	v_fmac_f32_e32 v37, 0x3e9e377a, v34
	v_mul_f32_e32 v34, 0xbf737871, v36
	s_delay_alu instid0(VALU_DEP_3) | instskip(SKIP_4) | instid1(VALU_DEP_4)
	v_fma_f32 v30, 0x3f737871, v15, -v30
	v_mul_f32_e32 v26, 0x3f4f1bbd, v29
	v_mul_f32_e32 v15, 0x3e9e377a, v15
	v_fma_f32 v31, 0x3f167918, v37, -v31
	v_fmac_f32_e32 v34, 0x3e9e377a, v38
	v_dual_add_f32 v51, v12, v30 :: v_dual_fmac_f32 v26, 0x3f167918, v33
	s_delay_alu instid0(VALU_DEP_4) | instskip(SKIP_1) | instid1(VALU_DEP_4)
	v_fma_f32 v14, 0xbf737871, v14, -v15
	v_mul_f32_e32 v35, 0x3f4f1bbd, v37
	v_dual_mul_f32 v29, 0xbf167918, v29 :: v_dual_add_f32 v50, v43, v34
	s_delay_alu instid0(VALU_DEP_4) | instskip(NEXT) | instid1(VALU_DEP_4)
	v_add_f32_e32 v47, v56, v26
	v_dual_add_f32 v53, v44, v31 :: v_dual_add_f32 v52, v13, v14
	s_delay_alu instid0(VALU_DEP_4) | instskip(NEXT) | instid1(VALU_DEP_4)
	v_fma_f32 v15, 0xbf167918, v32, -v35
	v_dual_fmac_f32 v29, 0x3f4f1bbd, v33 :: v_dual_add_f32 v32, v0, v4
	v_sub_f32_e32 v57, v56, v26
	v_sub_f32_e32 v56, v28, v25
	s_delay_alu instid0(VALU_DEP_4) | instskip(NEXT) | instid1(VALU_DEP_4)
	v_dual_add_f32 v54, v64, v15 :: v_dual_mul_f32 v27, 0x3f737871, v38
	v_add_f32_e32 v48, v42, v29
	v_fma_f32 v24, -0.5, v32, v20
	v_dual_sub_f32 v32, v17, v9 :: v_dual_sub_f32 v61, v12, v30
	s_delay_alu instid0(VALU_DEP_4) | instskip(NEXT) | instid1(VALU_DEP_2)
	v_dual_fmac_f32 v27, 0x3e9e377a, v36 :: v_dual_sub_f32 v12, v5, v1
	v_dual_sub_f32 v62, v13, v14 :: v_dual_fmamk_f32 v25, v32, 0x3f737871, v24
	v_dual_fmac_f32 v24, 0xbf737871, v32 :: v_dual_add_f32 v13, v1, v5
	s_delay_alu instid0(VALU_DEP_3) | instskip(NEXT) | instid1(VALU_DEP_3)
	v_sub_f32_e32 v59, v58, v27
	v_dual_sub_f32 v64, v64, v15 :: v_dual_fmac_f32 v25, 0x3f167918, v12
	v_sub_f32_e32 v14, v4, v16
	v_sub_f32_e32 v15, v0, v8
	v_dual_add_f32 v49, v58, v27 :: v_dual_sub_f32 v26, v16, v4
	v_fmac_f32_e32 v24, 0xbf167918, v12
	v_sub_f32_e32 v58, v42, v29
	s_delay_alu instid0(VALU_DEP_4) | instskip(SKIP_4) | instid1(VALU_DEP_4)
	v_dual_add_f32 v14, v15, v14 :: v_dual_sub_f32 v15, v17, v5
	v_sub_f32_e32 v27, v8, v0
	v_add_f32_e32 v28, v8, v16
	v_dual_sub_f32 v30, v9, v1 :: v_dual_sub_f32 v63, v44, v31
	v_sub_f32_e32 v60, v43, v34
	v_add_f32_e32 v29, v27, v26
	s_delay_alu instid0(VALU_DEP_4)
	v_fma_f32 v26, -0.5, v28, v20
	v_fma_f32 v28, -0.5, v13, v21
	v_add_f32_e32 v31, v9, v17
	v_add_f32_e32 v15, v30, v15
	v_fmac_f32_e32 v25, 0x3e9e377a, v29
	v_fmamk_f32 v27, v12, 0xbf737871, v26
	v_fmac_f32_e32 v26, 0x3f737871, v12
	v_fmac_f32_e32 v24, 0x3e9e377a, v29
	v_fma_f32 v30, -0.5, v31, v21
	v_sub_f32_e32 v33, v7, v3
	v_fmac_f32_e32 v27, 0x3f167918, v32
	v_fmac_f32_e32 v26, 0xbf167918, v32
	v_sub_f32_e32 v13, v16, v8
	v_sub_f32_e32 v12, v4, v0
	s_delay_alu instid0(VALU_DEP_4) | instskip(NEXT) | instid1(VALU_DEP_4)
	v_dual_sub_f32 v32, v1, v9 :: v_dual_fmac_f32 v27, 0x3e9e377a, v14
	v_fmac_f32_e32 v26, 0x3e9e377a, v14
	s_delay_alu instid0(VALU_DEP_4) | instskip(SKIP_3) | instid1(VALU_DEP_4)
	v_fmamk_f32 v29, v13, 0xbf737871, v28
	v_fmac_f32_e32 v28, 0x3f737871, v13
	v_dual_add_f32 v14, v6, v2 :: v_dual_fmamk_f32 v31, v12, 0x3f737871, v30
	v_fmac_f32_e32 v30, 0xbf737871, v12
	v_fmac_f32_e32 v29, 0xbf167918, v12
	s_delay_alu instid0(VALU_DEP_4) | instskip(NEXT) | instid1(VALU_DEP_4)
	v_fmac_f32_e32 v28, 0x3f167918, v12
	v_fma_f32 v12, -0.5, v14, v22
	v_dual_sub_f32 v14, v19, v11 :: v_dual_fmac_f32 v31, 0xbf167918, v13
	s_delay_alu instid0(VALU_DEP_4)
	v_dual_sub_f32 v36, v2, v10 :: v_dual_fmac_f32 v29, 0x3e9e377a, v15
	v_sub_f32_e32 v34, v18, v6
	v_dual_fmac_f32 v28, 0x3e9e377a, v15 :: v_dual_sub_f32 v15, v5, v17
	v_dual_fmac_f32 v30, 0x3f167918, v13 :: v_dual_sub_f32 v35, v10, v2
	v_add_f32_e32 v13, v10, v18
	v_add_f32_e32 v37, v7, v3
	s_delay_alu instid0(VALU_DEP_4) | instskip(SKIP_1) | instid1(VALU_DEP_4)
	v_dual_add_f32 v15, v32, v15 :: v_dual_fmamk_f32 v32, v14, 0x3f737871, v12
	v_sub_f32_e32 v38, v6, v2
	v_fma_f32 v13, -0.5, v13, v22
	s_delay_alu instid0(VALU_DEP_4) | instskip(NEXT) | instid1(VALU_DEP_4)
	v_fma_f32 v39, -0.5, v37, v23
	v_fmac_f32_e32 v31, 0x3e9e377a, v15
	v_dual_fmac_f32 v30, 0x3e9e377a, v15 :: v_dual_add_f32 v15, v35, v34
	v_dual_sub_f32 v35, v6, v18 :: v_dual_fmac_f32 v32, 0x3f167918, v33
	v_dual_fmamk_f32 v34, v33, 0xbf737871, v13 :: v_dual_sub_f32 v37, v18, v10
	s_delay_alu instid0(VALU_DEP_2) | instskip(NEXT) | instid1(VALU_DEP_3)
	v_dual_fmac_f32 v12, 0xbf737871, v14 :: v_dual_add_f32 v35, v36, v35
	v_fmac_f32_e32 v32, 0x3e9e377a, v15
	v_dual_add_f32 v36, v11, v19 :: v_dual_fmac_f32 v13, 0x3f737871, v33
	s_delay_alu instid0(VALU_DEP_4) | instskip(NEXT) | instid1(VALU_DEP_4)
	v_fmac_f32_e32 v34, 0x3f167918, v14
	v_fmac_f32_e32 v12, 0xbf167918, v33
	v_fmamk_f32 v33, v37, 0xbf737871, v39
	s_delay_alu instid0(VALU_DEP_4) | instskip(SKIP_1) | instid1(VALU_DEP_3)
	v_fma_f32 v43, -0.5, v36, v23
	v_dual_sub_f32 v36, v19, v7 :: v_dual_fmac_f32 v39, 0x3f737871, v37
	v_dual_sub_f32 v42, v7, v19 :: v_dual_fmac_f32 v33, 0xbf167918, v38
	s_delay_alu instid0(VALU_DEP_2) | instskip(SKIP_1) | instid1(VALU_DEP_2)
	v_dual_fmac_f32 v34, 0x3e9e377a, v35 :: v_dual_add_f32 v41, v41, v36
	v_fmac_f32_e32 v13, 0xbf167918, v14
	v_fmac_f32_e32 v33, 0x3e9e377a, v41
	;; [unrolled: 1-line block ×3, first 2 shown]
	s_delay_alu instid0(VALU_DEP_1) | instskip(SKIP_1) | instid1(VALU_DEP_1)
	v_dual_fmac_f32 v12, 0x3e9e377a, v15 :: v_dual_fmac_f32 v39, 0x3e9e377a, v41
	v_mul_f32_e32 v41, 0xbf167918, v32
	v_fmac_f32_e32 v41, 0x3f4f1bbd, v33
	v_fmamk_f32 v44, v38, 0x3f737871, v43
	v_fmac_f32_e32 v43, 0xbf737871, v38
	v_add_f32_e32 v36, v65, v42
	v_mul_f32_e32 v42, 0xbf737871, v34
	s_delay_alu instid0(VALU_DEP_4) | instskip(NEXT) | instid1(VALU_DEP_4)
	v_fmac_f32_e32 v44, 0xbf167918, v37
	v_fmac_f32_e32 v43, 0x3f167918, v37
	s_delay_alu instid0(VALU_DEP_2) | instskip(NEXT) | instid1(VALU_DEP_1)
	v_dual_fmac_f32 v44, 0x3e9e377a, v36 :: v_dual_fmac_f32 v13, 0x3e9e377a, v35
	v_fmac_f32_e32 v42, 0x3e9e377a, v44
	s_delay_alu instid0(VALU_DEP_2) | instskip(SKIP_2) | instid1(VALU_DEP_4)
	v_dual_fmac_f32 v43, 0x3e9e377a, v36 :: v_dual_mul_f32 v14, 0x3e9e377a, v13
	v_mul_f32_e32 v36, 0x3f167918, v33
	v_sub_f32_e32 v33, v29, v41
	v_sub_f32_e32 v35, v31, v42
	s_delay_alu instid0(VALU_DEP_4) | instskip(SKIP_3) | instid1(VALU_DEP_4)
	v_mul_f32_e32 v15, 0x3e9e377a, v43
	v_fma_f32 v38, 0x3f737871, v43, -v14
	v_mul_f32_e32 v37, 0x3f737871, v44
	v_fmac_f32_e32 v36, 0x3f4f1bbd, v32
	v_fma_f32 v43, 0xbf737871, v13, -v15
	v_mul_lo_u16 v13, v119, 10
	v_mul_f32_e32 v14, 0x3f4f1bbd, v12
	s_delay_alu instid0(VALU_DEP_2) | instskip(NEXT) | instid1(VALU_DEP_4)
	v_and_b32_e32 v65, 0xffff, v13
	v_sub_f32_e32 v13, v30, v43
	v_mul_f32_e32 v32, 0x3f4f1bbd, v39
	s_delay_alu instid0(VALU_DEP_4) | instskip(NEXT) | instid1(VALU_DEP_4)
	v_fma_f32 v39, 0x3f167918, v39, -v14
	v_lshlrev_b32_e32 v153, 3, v65
	ds_store_b128 v153, v[45:48]
	ds_store_b128 v153, v[49:52] offset:16
	ds_store_b128 v153, v[53:56] offset:32
	;; [unrolled: 1-line block ×4, first 2 shown]
	v_fma_f32 v44, 0xbf167918, v12, -v32
	v_sub_f32_e32 v12, v26, v38
	v_dual_fmac_f32 v37, 0x3e9e377a, v34 :: v_dual_sub_f32 v14, v24, v39
	v_sub_f32_e32 v32, v25, v36
	s_delay_alu instid0(VALU_DEP_2)
	v_dual_sub_f32 v15, v28, v44 :: v_dual_sub_f32 v34, v27, v37
	s_and_saveexec_b32 s0, vcc_lo
	s_cbranch_execz .LBB0_7
; %bb.6:
	v_dual_add_f32 v17, v17, v21 :: v_dual_add_f32 v16, v16, v20
	v_dual_add_f32 v19, v19, v23 :: v_dual_add_f32 v18, v18, v22
	s_delay_alu instid0(VALU_DEP_2) | instskip(NEXT) | instid1(VALU_DEP_2)
	v_dual_add_f32 v5, v5, v17 :: v_dual_add_f32 v4, v4, v16
	v_dual_add_f32 v7, v7, v19 :: v_dual_add_f32 v6, v6, v18
	s_delay_alu instid0(VALU_DEP_2) | instskip(NEXT) | instid1(VALU_DEP_2)
	v_dual_add_f32 v1, v1, v5 :: v_dual_lshlrev_b32 v16, 3, v151
	v_dual_add_f32 v0, v0, v4 :: v_dual_add_f32 v3, v3, v7
	s_delay_alu instid0(VALU_DEP_3) | instskip(NEXT) | instid1(VALU_DEP_3)
	v_add_f32_e32 v2, v2, v6
	v_dual_add_f32 v7, v30, v43 :: v_dual_add_f32 v4, v9, v1
	s_delay_alu instid0(VALU_DEP_3) | instskip(NEXT) | instid1(VALU_DEP_4)
	v_dual_add_f32 v1, v28, v44 :: v_dual_add_f32 v6, v11, v3
	v_dual_add_f32 v11, v29, v41 :: v_dual_add_f32 v0, v8, v0
	s_delay_alu instid0(VALU_DEP_4) | instskip(SKIP_1) | instid1(VALU_DEP_4)
	v_add_f32_e32 v8, v10, v2
	v_add_f32_e32 v5, v31, v42
	v_dual_sub_f32 v3, v4, v6 :: v_dual_add_f32 v10, v25, v36
	v_add_f32_e32 v9, v6, v4
	s_delay_alu instid0(VALU_DEP_4)
	v_sub_f32_e32 v2, v0, v8
	v_add_f32_e32 v8, v8, v0
	v_add_f32_e32 v6, v26, v38
	;; [unrolled: 1-line block ×4, first 2 shown]
	ds_store_b128 v16, v[8:11]
	ds_store_b128 v16, v[4:7] offset:16
	ds_store_b128 v16, v[0:3] offset:32
	;; [unrolled: 1-line block ×4, first 2 shown]
.LBB0_7:
	s_wait_alu 0xfffe
	s_or_b32 exec_lo, exec_lo, s0
	v_and_b32_e32 v0, 0xff, v119
	global_wb scope:SCOPE_SE
	s_wait_dscnt 0x0
	s_barrier_signal -1
	s_barrier_wait -1
	global_inv scope:SCOPE_SE
	v_mul_lo_u16 v0, 0xcd, v0
	v_cmp_gt_u16_e64 s0, 30, v119
	s_delay_alu instid0(VALU_DEP_2) | instskip(NEXT) | instid1(VALU_DEP_1)
	v_lshrrev_b16 v41, 11, v0
	v_mul_lo_u16 v0, v41, 10
	s_delay_alu instid0(VALU_DEP_1) | instskip(NEXT) | instid1(VALU_DEP_1)
	v_sub_nc_u16 v0, v119, v0
	v_and_b32_e32 v53, 0xff, v0
	s_delay_alu instid0(VALU_DEP_1)
	v_mad_co_u64_u32 v[36:37], null, 0x78, v53, s[2:3]
	s_clause 0x7
	global_load_b128 v[28:31], v[36:37], off
	global_load_b128 v[20:23], v[36:37], off offset:16
	global_load_b128 v[8:11], v[36:37], off offset:32
	;; [unrolled: 1-line block ×6, first 2 shown]
	global_load_b64 v[141:142], v[36:37], off offset:112
	v_add_nc_u32_e32 v72, 0x400, v149
	v_and_b32_e32 v45, 0xffff, v41
	ds_load_2addr_b64 v[36:39], v149 offset1:90
	v_add_nc_u32_e32 v75, 0x2000, v149
	v_add_nc_u32_e32 v65, 0x2400, v149
	ds_load_2addr_b64 v[41:44], v72 offset0:52 offset1:142
	v_add_nc_u32_e32 v73, 0x800, v149
	v_mul_u32_u24_e32 v54, 0xa0, v45
	s_wait_loadcnt_dscnt 0x700
	v_mul_f32_e32 v78, v41, v31
	ds_load_2addr_b64 v[45:48], v73 offset0:104 offset1:194
	v_add_nc_u32_e32 v74, 0x1000, v149
	v_add_nc_u32_e32 v57, 0x1800, v149
	v_mul_f32_e32 v70, v38, v29
	v_or_b32_e32 v69, v54, v53
	v_mul_f32_e32 v71, v42, v31
	v_fmac_f32_e32 v78, v42, v30
	s_delay_alu instid0(VALU_DEP_4)
	v_fmac_f32_e32 v70, v39, v28
	s_wait_loadcnt_dscnt 0x600
	v_mul_f32_e32 v82, v45, v23
	v_mul_f32_e32 v81, v46, v23
	ds_load_2addr_b64 v[49:52], v74 offset0:28 offset1:118
	v_add_nc_u32_e32 v76, 0x1400, v149
	v_fmac_f32_e32 v82, v46, v22
	v_fma_f32 v42, v45, v22, -v81
	s_wait_loadcnt_dscnt 0x500
	v_mul_f32_e32 v85, v50, v11
	ds_load_2addr_b64 v[53:56], v76 offset0:80 offset1:170
	ds_load_2addr_b64 v[57:60], v57 offset0:132 offset1:222
	;; [unrolled: 1-line block ×4, first 2 shown]
	v_lshlrev_b32_e32 v152, 3, v69
	v_mul_f32_e32 v69, v39, v29
	v_mul_f32_e32 v79, v44, v21
	;; [unrolled: 1-line block ×3, first 2 shown]
	v_dual_mul_f32 v83, v48, v9 :: v_dual_mul_f32 v86, v49, v11
	s_wait_loadcnt 0x4
	v_mul_f32_e32 v87, v52, v1
	v_mul_f32_e32 v84, v47, v9
	;; [unrolled: 1-line block ×3, first 2 shown]
	v_fma_f32 v38, v38, v28, -v69
	v_fma_f32 v39, v41, v30, -v71
	;; [unrolled: 1-line block ×3, first 2 shown]
	v_add_nc_u32_e32 v77, 0x1c00, v149
	global_wb scope:SCOPE_SE
	s_wait_loadcnt_dscnt 0x0
	v_fmac_f32_e32 v86, v50, v10
	s_barrier_signal -1
	v_mul_f32_e32 v89, v54, v3
	v_mul_f32_e32 v91, v56, v25
	v_dual_mul_f32 v92, v55, v25 :: v_dual_mul_f32 v103, v68, v142
	v_mul_f32_e32 v95, v60, v17
	v_dual_mul_f32 v99, v64, v5 :: v_dual_mul_f32 v90, v53, v3
	v_mul_f32_e32 v93, v58, v27
	v_mul_f32_e32 v94, v57, v27
	;; [unrolled: 1-line block ×4, first 2 shown]
	v_fma_f32 v41, v43, v20, -v79
	v_fma_f32 v43, v47, v8, -v83
	;; [unrolled: 1-line block ×4, first 2 shown]
	v_fmac_f32_e32 v80, v44, v20
	v_fma_f32 v44, v49, v10, -v85
	v_fma_f32 v49, v59, v16, -v95
	v_fma_f32 v51, v63, v4, -v99
	v_sub_f32_e32 v47, v38, v47
	v_fma_f32 v53, v67, v141, -v103
	v_dual_fmac_f32 v92, v56, v24 :: v_dual_mul_f32 v97, v62, v19
	v_dual_mul_f32 v101, v66, v7 :: v_dual_fmac_f32 v84, v48, v8
	v_dual_sub_f32 v51, v43, v51 :: v_dual_fmac_f32 v88, v52, v0
	v_sub_f32_e32 v49, v41, v49
	v_fmac_f32_e32 v104, v68, v141
	v_dual_fmac_f32 v94, v58, v26 :: v_dual_sub_f32 v53, v45, v53
	v_sub_f32_e32 v58, v70, v92
	v_mul_f32_e32 v98, v61, v19
	v_fma_f32 v50, v61, v18, -v97
	v_fma_f32 v43, v43, 2.0, -v51
	v_fma_f32 v48, v57, v26, -v93
	v_add_f32_e32 v51, v58, v51
	v_dual_sub_f32 v61, v88, v104 :: v_dual_fmac_f32 v102, v66, v6
	v_fma_f32 v38, v38, 2.0, -v47
	s_delay_alu instid0(VALU_DEP_4) | instskip(SKIP_1) | instid1(VALU_DEP_4)
	v_sub_f32_e32 v48, v39, v48
	v_sub_f32_e32 v46, v36, v46
	v_fma_f32 v68, v88, 2.0, -v61
	v_sub_f32_e32 v61, v49, v61
	v_dual_sub_f32 v43, v38, v43 :: v_dual_mul_f32 v100, v63, v5
	v_sub_f32_e32 v57, v86, v102
	v_fmac_f32_e32 v98, v62, v18
	v_fma_f32 v52, v65, v6, -v101
	v_fma_f32 v45, v45, 2.0, -v53
	v_fmac_f32_e32 v100, v64, v4
	v_fmac_f32_e32 v90, v54, v2
	v_fma_f32 v64, v86, 2.0, -v57
	v_sub_f32_e32 v57, v48, v57
	v_dual_mul_f32 v96, v59, v17 :: v_dual_sub_f32 v55, v82, v98
	v_sub_f32_e32 v59, v84, v100
	v_fma_f32 v41, v41, 2.0, -v49
	v_sub_f32_e32 v50, v42, v50
	s_delay_alu instid0(VALU_DEP_4)
	v_fmac_f32_e32 v96, v60, v16
	v_fma_f32 v62, v82, 2.0, -v55
	v_sub_f32_e32 v55, v46, v55
	v_fma_f32 v66, v84, 2.0, -v59
	v_dual_sub_f32 v59, v47, v59 :: v_dual_sub_f32 v56, v78, v94
	v_fma_f32 v49, v49, 2.0, -v61
	s_delay_alu instid0(VALU_DEP_4) | instskip(SKIP_1) | instid1(VALU_DEP_4)
	v_fmamk_f32 v69, v57, 0x3f3504f3, v55
	v_fma_f32 v36, v36, 2.0, -v46
	v_dual_fmamk_f32 v71, v61, 0x3f3504f3, v59 :: v_dual_sub_f32 v60, v80, v96
	v_sub_f32_e32 v54, v37, v90
	v_fma_f32 v63, v78, 2.0, -v56
	v_fma_f32 v47, v47, 2.0, -v59
	v_sub_f32_e32 v52, v44, v52
	v_add_f32_e32 v53, v60, v53
	v_fma_f32 v37, v37, 2.0, -v54
	v_sub_f32_e32 v64, v63, v64
	v_fma_f32 v39, v39, 2.0, -v48
	v_fma_f32 v44, v44, 2.0, -v52
	v_sub_f32_e32 v45, v41, v45
	v_sub_f32_e32 v62, v37, v62
	v_fma_f32 v42, v42, 2.0, -v50
	v_fmamk_f32 v78, v53, 0x3f3504f3, v51
	v_fmac_f32_e32 v71, 0xbf3504f3, v53
	v_fma_f32 v67, v80, 2.0, -v60
	v_fma_f32 v80, v37, 2.0, -v62
	;; [unrolled: 1-line block ×4, first 2 shown]
	v_sub_f32_e32 v44, v39, v44
	v_fmac_f32_e32 v78, 0x3f3504f3, v61
	s_delay_alu instid0(VALU_DEP_4) | instskip(NEXT) | instid1(VALU_DEP_3)
	v_dual_sub_f32 v68, v67, v68 :: v_dual_sub_f32 v61, v80, v37
	v_dual_sub_f32 v42, v36, v42 :: v_dual_add_f32 v81, v62, v44
	v_fma_f32 v60, v60, 2.0, -v53
	s_delay_alu instid0(VALU_DEP_3) | instskip(SKIP_1) | instid1(VALU_DEP_4)
	v_fma_f32 v63, v67, 2.0, -v68
	v_fma_f32 v48, v48, 2.0, -v57
	v_fma_f32 v79, v36, 2.0, -v42
	v_fma_f32 v36, v39, 2.0, -v44
	v_sub_f32_e32 v66, v65, v66
	v_fma_f32 v46, v46, 2.0, -v55
	v_fma_f32 v41, v41, 2.0, -v45
	;; [unrolled: 1-line block ×3, first 2 shown]
	v_sub_f32_e32 v53, v79, v36
	v_fma_f32 v39, v65, 2.0, -v66
	v_add_f32_e32 v52, v56, v52
	v_fmamk_f32 v65, v48, 0xbf3504f3, v46
	v_fma_f32 v58, v58, 2.0, -v51
	v_fma_f32 v59, v59, 2.0, -v71
	s_barrier_wait -1
	v_fma_f32 v56, v56, 2.0, -v52
	v_dual_add_f32 v50, v54, v50 :: v_dual_fmac_f32 v69, 0xbf3504f3, v52
	v_fmamk_f32 v82, v60, 0xbf3504f3, v58
	v_fma_f32 v62, v62, 2.0, -v81
	s_delay_alu instid0(VALU_DEP_4) | instskip(NEXT) | instid1(VALU_DEP_4)
	v_fmac_f32_e32 v65, 0xbf3504f3, v56
	v_fma_f32 v54, v54, 2.0, -v50
	v_fma_f32 v84, v55, 2.0, -v69
	v_fmac_f32_e32 v82, 0x3f3504f3, v49
	v_sub_f32_e32 v44, v38, v41
	v_fmamk_f32 v112, v71, 0x3f6c835e, v69
	v_fmamk_f32 v67, v56, 0xbf3504f3, v54
	;; [unrolled: 1-line block ×4, first 2 shown]
	v_fma_f32 v58, v58, 2.0, -v82
	global_inv scope:SCOPE_SE
	v_fmac_f32_e32 v67, 0x3f3504f3, v48
	v_fma_f32 v48, v38, 2.0, -v44
	v_fmac_f32_e32 v70, 0x3f3504f3, v57
	v_fmamk_f32 v57, v49, 0xbf3504f3, v47
	s_delay_alu instid0(VALU_DEP_2) | instskip(NEXT) | instid1(VALU_DEP_2)
	v_dual_fmamk_f32 v113, v78, 0x3f6c835e, v70 :: v_dual_sub_f32 v52, v43, v68
	v_dual_add_f32 v68, v66, v45 :: v_dual_fmac_f32 v57, 0xbf3504f3, v60
	v_sub_f32_e32 v45, v39, v63
	v_fma_f32 v60, v79, 2.0, -v53
	s_delay_alu instid0(VALU_DEP_4) | instskip(NEXT) | instid1(VALU_DEP_4)
	v_fma_f32 v55, v43, 2.0, -v52
	v_fma_f32 v56, v66, 2.0, -v68
	v_dual_fmamk_f32 v37, v68, 0x3f3504f3, v81 :: v_dual_sub_f32 v64, v42, v64
	v_fma_f32 v49, v39, 2.0, -v45
	v_sub_f32_e32 v43, v53, v45
	s_delay_alu instid0(VALU_DEP_4) | instskip(NEXT) | instid1(VALU_DEP_4)
	v_fmamk_f32 v39, v56, 0xbf3504f3, v62
	v_fmac_f32_e32 v37, 0x3f3504f3, v52
	v_fma_f32 v83, v42, 2.0, -v64
	v_fma_f32 v85, v50, 2.0, -v70
	s_delay_alu instid0(VALU_DEP_4)
	v_dual_fmamk_f32 v36, v52, 0x3f3504f3, v64 :: v_dual_fmac_f32 v39, 0x3f3504f3, v55
	v_fma_f32 v51, v51, 2.0, -v78
	v_fma_f32 v63, v80, 2.0, -v61
	;; [unrolled: 1-line block ×5, first 2 shown]
	v_fmamk_f32 v38, v55, 0xbf3504f3, v83
	v_fmamk_f32 v42, v51, 0xbec3ef15, v85
	;; [unrolled: 1-line block ×4, first 2 shown]
	v_dual_add_f32 v44, v61, v44 :: v_dual_fmac_f32 v113, 0x3ec3ef15, v71
	v_fmac_f32_e32 v36, 0xbf3504f3, v68
	v_dual_fmac_f32 v112, 0xbec3ef15, v78 :: v_dual_sub_f32 v47, v60, v48
	v_dual_sub_f32 v48, v63, v49 :: v_dual_fmamk_f32 v49, v80, 0xbf6c835e, v66
	v_fmamk_f32 v50, v58, 0xbf6c835e, v79
	v_fmac_f32_e32 v38, 0xbf3504f3, v56
	v_fmac_f32_e32 v41, 0xbf6c835e, v51
	;; [unrolled: 1-line block ×5, first 2 shown]
	v_fma_f32 v51, v53, 2.0, -v43
	v_fma_f32 v53, v64, 2.0, -v36
	;; [unrolled: 1-line block ×5, first 2 shown]
	v_fmac_f32_e32 v49, 0xbec3ef15, v58
	v_fmac_f32_e32 v50, 0x3ec3ef15, v80
	ds_store_2addr_b64 v152, v[36:37], v[112:113] offset0:140 offset1:150
	v_fma_f32 v36, v60, 2.0, -v47
	v_fma_f32 v57, v83, 2.0, -v38
	;; [unrolled: 1-line block ×9, first 2 shown]
	ds_store_2addr_b64 v152, v[53:54], v[55:56] offset0:60 offset1:70
	ds_store_2addr_b64 v152, v[38:39], v[41:42] offset0:100 offset1:110
	v_fma_f32 v38, v66, 2.0, -v49
	v_fma_f32 v39, v79, 2.0, -v50
	ds_store_2addr_b64 v152, v[43:44], v[45:46] offset0:120 offset1:130
	ds_store_2addr_b64 v152, v[57:58], v[59:60] offset0:20 offset1:30
	;; [unrolled: 1-line block ×4, first 2 shown]
	ds_store_2addr_b64 v152, v[36:37], v[38:39] offset1:10
	global_wb scope:SCOPE_SE
	s_wait_dscnt 0x0
	s_barrier_signal -1
	s_barrier_wait -1
	global_inv scope:SCOPE_SE
	ds_load_2addr_b64 v[68:71], v149 offset1:90
	ds_load_2addr_b64 v[60:63], v73 offset0:104 offset1:224
	ds_load_2addr_b64 v[80:83], v77 offset0:64 offset1:154
	;; [unrolled: 1-line block ×6, first 2 shown]
	ds_load_b64 v[88:89], v149 offset:10560
	s_and_saveexec_b32 s1, s0
	s_cbranch_execz .LBB0_9
; %bb.8:
	ds_load_b64 v[112:113], v149 offset:3600
	ds_load_b64 v[32:33], v149 offset:7440
	ds_load_b64 v[34:35], v149 offset:11280
.LBB0_9:
	s_wait_alu 0xfffe
	s_or_b32 exec_lo, exec_lo, s1
	v_add_co_u32 v38, s1, 0xffffffba, v119
	v_lshlrev_b64_e32 v[36:37], 4, v[119:120]
	s_wait_alu 0xf1ff
	v_add_co_ci_u32_e64 v39, null, 0, -1, s1
	v_cmp_gt_u16_e64 s1, 0x46, v119
	s_wait_alu 0xf1ff
	s_delay_alu instid0(VALU_DEP_1)
	v_cndmask_b32_e64 v91, v39, v40, s1
	v_cndmask_b32_e64 v90, v38, v157, s1
	v_add_co_u32 v145, s1, s2, v36
	s_wait_alu 0xf1ff
	v_add_co_ci_u32_e64 v146, s1, s3, v37, s1
	s_clause 0x1
	global_load_b128 v[40:43], v[145:146], off offset:1200
	global_load_b128 v[36:39], v[145:146], off offset:1520
	v_lshlrev_b64_e32 v[44:45], 4, v[90:91]
	s_delay_alu instid0(VALU_DEP_1) | instskip(SKIP_1) | instid1(VALU_DEP_2)
	v_add_co_u32 v44, s1, s2, v44
	s_wait_alu 0xf1ff
	v_add_co_ci_u32_e64 v45, s1, s3, v45, s1
	v_add_co_u32 v143, s1, 0x10e, v119
	s_wait_alu 0xf1ff
	v_add_co_ci_u32_e64 v144, null, 0, 0, s1
	v_add_co_u32 v114, s1, 0x168, v119
	s_wait_alu 0xf1ff
	v_add_co_ci_u32_e64 v115, null, 0, 0, s1
	v_add_co_u32 v158, s1, 0x1c2, v119
	v_and_b32_e32 v48, 0xffff, v143
	v_and_b32_e32 v49, 0xffff, v114
	global_load_b128 v[44:47], v[44:45], off offset:1200
	v_and_b32_e32 v50, 0xffff, v158
	s_wait_alu 0xf1ff
	v_add_co_ci_u32_e64 v159, null, 0, 0, s1
	v_mul_u32_u24_e32 v48, 0xcccd, v48
	v_mul_u32_u24_e32 v49, 0xcccd, v49
	;; [unrolled: 1-line block ×3, first 2 shown]
	s_delay_alu instid0(VALU_DEP_3) | instskip(NEXT) | instid1(VALU_DEP_3)
	v_lshrrev_b32_e32 v91, 23, v48
	v_lshrrev_b32_e32 v48, 23, v49
	s_delay_alu instid0(VALU_DEP_3) | instskip(NEXT) | instid1(VALU_DEP_3)
	v_lshrrev_b32_e32 v49, 23, v50
	v_mul_lo_u16 v50, 0xa0, v91
	s_delay_alu instid0(VALU_DEP_3) | instskip(NEXT) | instid1(VALU_DEP_3)
	v_mul_lo_u16 v48, 0xa0, v48
	v_mul_lo_u16 v49, 0xa0, v49
	s_delay_alu instid0(VALU_DEP_3) | instskip(NEXT) | instid1(VALU_DEP_3)
	v_sub_nc_u16 v92, v143, v50
	v_sub_nc_u16 v93, v114, v48
	s_delay_alu instid0(VALU_DEP_3) | instskip(NEXT) | instid1(VALU_DEP_3)
	v_sub_nc_u16 v94, v158, v49
	v_lshlrev_b16 v48, 4, v92
	s_delay_alu instid0(VALU_DEP_3) | instskip(NEXT) | instid1(VALU_DEP_3)
	v_lshlrev_b16 v49, 4, v93
	v_lshlrev_b16 v50, 4, v94
	v_mad_u16 v91, 0x1e0, v91, v92
	v_and_b32_e32 v92, 0xffff, v93
	v_and_b32_e32 v48, 0xffff, v48
	;; [unrolled: 1-line block ×5, first 2 shown]
	s_wait_loadcnt_dscnt 0x104
	v_dual_mul_f32 v95, v80, v43 :: v_dual_mul_f32 v96, v87, v37
	v_add_co_u32 v48, s1, s2, v48
	s_wait_alu 0xf1ff
	v_add_co_ci_u32_e64 v49, null, s3, 0, s1
	s_wait_dscnt 0x2
	v_mul_f32_e32 v98, v73, v39
	v_add_co_u32 v50, s1, s2, v51
	s_wait_alu 0xf1ff
	v_add_co_ci_u32_e64 v51, null, s3, 0, s1
	global_load_b128 v[56:59], v[48:49], off offset:1200
	v_mul_f32_e32 v97, v86, v37
	v_add_co_u32 v48, s1, s2, v52
	s_wait_alu 0xf1ff
	v_add_co_ci_u32_e64 v49, null, s3, 0, s1
	s_clause 0x1
	global_load_b128 v[52:55], v[50:51], off offset:1200
	global_load_b128 v[48:51], v[48:49], off offset:1200
	v_cmp_lt_u16_e64 s1, 0x45, v119
	v_dual_fmac_f32 v97, v87, v36 :: v_dual_and_b32 v154, 0xffff, v94
	v_lshlrev_b32_e32 v155, 3, v91
	v_mul_f32_e32 v91, v63, v41
	s_wait_alu 0xf1ff
	v_cndmask_b32_e64 v93, 0, 0x1e0, s1
	v_mul_f32_e32 v94, v81, v43
	v_dual_mul_f32 v99, v72, v39 :: v_dual_lshlrev_b32 v120, 3, v92
	v_fmac_f32_e32 v95, v81, v42
	s_delay_alu instid0(VALU_DEP_4) | instskip(SKIP_4) | instid1(VALU_DEP_4)
	v_add_lshl_u32 v156, v90, v93, 3
	v_mul_f32_e32 v93, v62, v41
	v_add_nc_u32_e32 v92, 0xe00, v149
	v_fma_f32 v62, v62, v40, -v91
	v_dual_fmac_f32 v99, v73, v38 :: v_dual_add_nc_u32 v90, 0x1c00, v120
	v_fmac_f32_e32 v93, v63, v40
	v_fma_f32 v63, v80, v42, -v94
	s_wait_loadcnt 0x3
	v_mul_f32_e32 v73, v85, v45
	v_fma_f32 v80, v86, v36, -v96
	v_fma_f32 v72, v72, v38, -v98
	v_mul_f32_e32 v86, v84, v45
	v_add_f32_e32 v94, v62, v63
	v_dual_mul_f32 v81, v83, v47 :: v_dual_add_f32 v98, v69, v93
	s_delay_alu instid0(VALU_DEP_4) | instskip(SKIP_1) | instid1(VALU_DEP_4)
	v_dual_mul_f32 v87, v82, v47 :: v_dual_add_f32 v102, v80, v72
	v_dual_add_f32 v91, v68, v62 :: v_dual_sub_f32 v96, v93, v95
	v_fma_f32 v68, -0.5, v94, v68
	v_add_f32_e32 v93, v93, v95
	v_dual_sub_f32 v100, v62, v63 :: v_dual_add_f32 v101, v64, v80
	v_dual_add_f32 v104, v65, v97 :: v_dual_sub_f32 v105, v80, v72
	v_fma_f32 v84, v84, v44, -v73
	v_dual_fmac_f32 v86, v85, v44 :: v_dual_fmac_f32 v87, v83, v46
	v_fma_f32 v85, v82, v46, -v81
	v_fmamk_f32 v80, v96, 0x3f5db3d7, v68
	v_fma_f32 v69, -0.5, v93, v69
	v_dual_sub_f32 v103, v97, v99 :: v_dual_fmac_f32 v68, 0xbf5db3d7, v96
	s_delay_alu instid0(VALU_DEP_4) | instskip(NEXT) | instid1(VALU_DEP_3)
	v_dual_add_f32 v97, v97, v99 :: v_dual_sub_f32 v96, v84, v85
	v_dual_add_f32 v62, v91, v63 :: v_dual_fmamk_f32 v81, v100, 0xbf5db3d7, v69
	v_dual_add_f32 v63, v98, v95 :: v_dual_add_f32 v72, v101, v72
	v_dual_fmac_f32 v69, 0x3f5db3d7, v100 :: v_dual_sub_f32 v94, v86, v87
	v_add_f32_e32 v93, v84, v85
	v_dual_add_f32 v95, v71, v86 :: v_dual_add_f32 v86, v86, v87
	v_fma_f32 v64, -0.5, v102, v64
	v_fma_f32 v65, -0.5, v97, v65
	v_add_f32_e32 v91, v70, v84
	v_fma_f32 v70, -0.5, v93, v70
	v_fmac_f32_e32 v71, -0.5, v86
	global_wb scope:SCOPE_SE
	s_wait_loadcnt_dscnt 0x0
	s_barrier_signal -1
	s_barrier_wait -1
	global_inv scope:SCOPE_SE
	v_dual_add_f32 v73, v104, v99 :: v_dual_fmamk_f32 v82, v103, 0x3f5db3d7, v64
	v_dual_fmac_f32 v64, 0xbf5db3d7, v103 :: v_dual_fmamk_f32 v83, v105, 0xbf5db3d7, v65
	v_add_f32_e32 v84, v91, v85
	ds_store_2addr_b64 v149, v[62:63], v[80:81] offset1:160
	ds_store_b64 v149, v[68:69] offset:2560
	v_dual_fmamk_f32 v62, v94, 0x3f5db3d7, v70 :: v_dual_add_f32 v85, v95, v87
	v_fmac_f32_e32 v70, 0xbf5db3d7, v94
	v_dual_fmac_f32 v65, 0x3f5db3d7, v105 :: v_dual_mul_f32 v80, v75, v59
	v_dual_mul_f32 v68, v77, v57 :: v_dual_fmamk_f32 v63, v96, 0xbf5db3d7, v71
	v_fmac_f32_e32 v71, 0x3f5db3d7, v96
	v_mul_f32_e32 v69, v76, v57
	v_mul_f32_e32 v86, v79, v53
	;; [unrolled: 1-line block ×4, first 2 shown]
	ds_store_2addr_b64 v156, v[84:85], v[62:63] offset1:160
	ds_store_b64 v156, v[70:71] offset:2560
	ds_store_2addr_b64 v92, v[72:73], v[82:83] offset0:52 offset1:212
	ds_store_b64 v149, v[64:65] offset:6560
	v_fma_f32 v62, v76, v56, -v68
	v_fma_f32 v64, v78, v52, -v86
	v_mul_f32_e32 v91, v89, v55
	v_fma_f32 v63, v74, v58, -v80
	v_mul_f32_e32 v95, v32, v49
	;; [unrolled: 2-line block ×4, first 2 shown]
	v_mul_f32_e32 v97, v34, v51
	v_fma_f32 v68, v34, v50, -v96
	v_add_f32_e32 v34, v62, v63
	v_dual_sub_f32 v76, v64, v65 :: v_dual_fmac_f32 v95, v33, v48
	v_add_f32_e32 v33, v66, v62
	v_dual_sub_f32 v71, v62, v63 :: v_dual_add_f32 v62, v60, v64
	v_add_f32_e32 v72, v64, v65
	v_dual_add_f32 v64, v112, v32 :: v_dual_fmac_f32 v97, v35, v50
	v_sub_f32_e32 v84, v32, v68
	v_fma_f32 v66, -0.5, v34, v66
	v_add_f32_e32 v34, v62, v65
	s_delay_alu instid0(VALU_DEP_4) | instskip(SKIP_4) | instid1(VALU_DEP_4)
	v_add_f32_e32 v82, v64, v68
	v_fmac_f32_e32 v87, v79, v52
	v_dual_fmac_f32 v69, v77, v56 :: v_dual_sub_f32 v78, v95, v97
	v_fma_f32 v60, -0.5, v72, v60
	v_dual_add_f32 v77, v32, v68 :: v_dual_add_f32 v32, v33, v63
	v_dual_fmac_f32 v81, v75, v58 :: v_dual_add_f32 v74, v61, v87
	v_dual_mul_f32 v93, v88, v55 :: v_dual_add_f32 v80, v95, v97
	s_delay_alu instid0(VALU_DEP_3) | instskip(NEXT) | instid1(VALU_DEP_3)
	v_fmac_f32_e32 v112, -0.5, v77
	v_sub_f32_e32 v70, v69, v81
	v_add_f32_e32 v35, v67, v69
	s_delay_alu instid0(VALU_DEP_4) | instskip(SKIP_3) | instid1(VALU_DEP_4)
	v_fmac_f32_e32 v93, v89, v54
	v_add_f32_e32 v69, v69, v81
	v_add_f32_e32 v79, v113, v95
	v_dual_fmac_f32 v113, -0.5, v80 :: v_dual_fmamk_f32 v80, v78, 0x3f5db3d7, v112
	v_dual_fmac_f32 v112, 0xbf5db3d7, v78 :: v_dual_sub_f32 v73, v87, v93
	v_dual_add_f32 v75, v87, v93 :: v_dual_fmamk_f32 v62, v70, 0x3f5db3d7, v66
	v_dual_fmac_f32 v66, 0xbf5db3d7, v70 :: v_dual_fmac_f32 v67, -0.5, v69
	s_delay_alu instid0(VALU_DEP_2) | instskip(SKIP_2) | instid1(VALU_DEP_4)
	v_dual_fmamk_f32 v64, v73, 0x3f5db3d7, v60 :: v_dual_fmac_f32 v61, -0.5, v75
	v_add_f32_e32 v33, v35, v81
	v_add_f32_e32 v83, v79, v97
	v_fmamk_f32 v63, v71, 0xbf5db3d7, v67
	v_fmamk_f32 v81, v84, 0xbf5db3d7, v113
	v_fmac_f32_e32 v113, 0x3f5db3d7, v84
	v_fmac_f32_e32 v67, 0x3f5db3d7, v71
	v_add_f32_e32 v35, v74, v93
	v_dual_fmamk_f32 v65, v76, 0xbf5db3d7, v61 :: v_dual_fmac_f32 v60, 0xbf5db3d7, v73
	v_fmac_f32_e32 v61, 0x3f5db3d7, v76
	ds_store_2addr_b64 v155, v[32:33], v[62:63] offset1:160
	ds_store_b64 v155, v[66:67] offset:2560
	ds_store_2addr_b64 v90, v[34:35], v[64:65] offset0:64 offset1:224
	ds_store_b64 v120, v[60:61] offset:10240
	s_and_saveexec_b32 s1, s0
	s_cbranch_execz .LBB0_11
; %bb.10:
	v_lshlrev_b32_e32 v32, 3, v154
	s_delay_alu instid0(VALU_DEP_1)
	v_add_nc_u32_e32 v33, 0x1c00, v32
	ds_store_2addr_b64 v33, v[82:83], v[80:81] offset0:64 offset1:224
	ds_store_b64 v32, v[112:113] offset:10240
.LBB0_11:
	s_wait_alu 0xfffe
	s_or_b32 exec_lo, exec_lo, s1
	v_add_nc_u32_e32 v32, 0x800, v149
	global_wb scope:SCOPE_SE
	s_wait_dscnt 0x0
	s_barrier_signal -1
	s_barrier_wait -1
	global_inv scope:SCOPE_SE
	ds_load_2addr_b64 v[92:95], v149 offset1:90
	ds_load_2addr_b64 v[84:87], v32 offset0:104 offset1:224
	v_add_nc_u32_e32 v32, 0x1c00, v149
	v_add_nc_u32_e32 v163, 0x1000, v149
	;; [unrolled: 1-line block ×5, first 2 shown]
	ds_load_2addr_b64 v[108:111], v32 offset0:64 offset1:154
	ds_load_2addr_b64 v[104:107], v163 offset0:58 offset1:148
	;; [unrolled: 1-line block ×5, first 2 shown]
	ds_load_b64 v[147:148], v149 offset:10560
	s_and_saveexec_b32 s1, s0
	s_cbranch_execz .LBB0_13
; %bb.12:
	ds_load_b64 v[82:83], v149 offset:3600
	ds_load_b64 v[80:81], v149 offset:7440
	ds_load_b64 v[112:113], v149 offset:11280
.LBB0_13:
	s_wait_alu 0xfffe
	s_or_b32 exec_lo, exec_lo, s1
	global_load_b128 v[64:67], v[145:146], off offset:3760
	v_lshlrev_b32_e32 v32, 4, v157
	v_lshl_add_u32 v33, v119, 4, 0xb40
	v_lshlrev_b64_e32 v[34:35], 4, v[114:115]
	s_clause 0x1
	global_load_b128 v[72:75], v32, s[2:3] offset:3760
	global_load_b128 v[60:63], v33, s[2:3] offset:3760
	v_lshlrev_b64_e32 v[32:33], 4, v[143:144]
	s_delay_alu instid0(VALU_DEP_1) | instskip(SKIP_1) | instid1(VALU_DEP_2)
	v_add_co_u32 v32, s1, s2, v32
	s_wait_alu 0xf1ff
	v_add_co_ci_u32_e64 v33, s1, s3, v33, s1
	v_add_co_u32 v34, s1, s2, v34
	s_wait_alu 0xf1ff
	v_add_co_ci_u32_e64 v35, s1, s3, v35, s1
	s_clause 0x1
	global_load_b128 v[76:79], v[32:33], off offset:3760
	global_load_b128 v[68:71], v[34:35], off offset:3760
	v_add_co_u32 v32, s1, 0xffffffe2, v119
	s_wait_alu 0xf1ff
	v_add_co_ci_u32_e64 v33, null, 0, -1, s1
	s_delay_alu instid0(VALU_DEP_2) | instskip(NEXT) | instid1(VALU_DEP_2)
	v_cndmask_b32_e64 v32, v32, v158, s0
	v_cndmask_b32_e64 v33, v33, v159, s0
	s_delay_alu instid0(VALU_DEP_1) | instskip(NEXT) | instid1(VALU_DEP_1)
	v_lshlrev_b64_e32 v[32:33], 4, v[32:33]
	v_add_co_u32 v32, s1, s2, v32
	s_wait_alu 0xf1ff
	s_delay_alu instid0(VALU_DEP_2)
	v_add_co_ci_u32_e64 v33, s1, s3, v33, s1
	global_load_b128 v[32:35], v[32:33], off offset:3760
	s_wait_loadcnt_dscnt 0x505
	v_dual_mul_f32 v143, v109, v67 :: v_dual_mul_f32 v114, v87, v65
	v_dual_mul_f32 v115, v86, v65 :: v_dual_mul_f32 v144, v108, v67
	s_wait_loadcnt_dscnt 0x302
	v_dual_mul_f32 v145, v107, v61 :: v_dual_mul_f32 v158, v100, v63
	s_delay_alu instid0(VALU_DEP_2)
	v_dual_fmac_f32 v115, v87, v64 :: v_dual_fmac_f32 v144, v109, v66
	v_fma_f32 v87, v108, v66, -v143
	v_mul_f32_e32 v109, v104, v73
	v_mul_f32_e32 v143, v110, v75
	v_fma_f32 v86, v86, v64, -v114
	v_mul_f32_e32 v114, v111, v75
	v_mul_f32_e32 v108, v105, v73
	v_dual_mul_f32 v146, v106, v61 :: v_dual_mul_f32 v157, v101, v63
	v_fmac_f32_e32 v109, v105, v72
	s_delay_alu instid0(VALU_DEP_4)
	v_fma_f32 v105, v110, v74, -v114
	v_dual_sub_f32 v114, v86, v87 :: v_dual_fmac_f32 v143, v111, v74
	v_fma_f32 v104, v104, v72, -v108
	v_fma_f32 v106, v106, v60, -v145
	v_fmac_f32_e32 v146, v107, v60
	v_fma_f32 v100, v100, v62, -v157
	v_dual_fmac_f32 v158, v101, v62 :: v_dual_add_f32 v107, v86, v87
	v_dual_add_f32 v101, v92, v86 :: v_dual_sub_f32 v108, v115, v144
	v_dual_add_f32 v110, v93, v115 :: v_dual_add_f32 v111, v115, v144
	s_wait_loadcnt_dscnt 0x201
	v_mul_f32_e32 v115, v97, v77
	s_delay_alu instid0(VALU_DEP_3)
	v_dual_mul_f32 v145, v96, v77 :: v_dual_add_f32 v86, v101, v87
	v_mul_f32_e32 v157, v103, v79
	s_wait_loadcnt 0x1
	v_dual_mul_f32 v159, v102, v79 :: v_dual_mul_f32 v164, v99, v69
	s_wait_dscnt 0x0
	v_dual_mul_f32 v165, v98, v69 :: v_dual_mul_f32 v166, v148, v71
	v_mul_f32_e32 v167, v147, v71
	v_fma_f32 v92, -0.5, v107, v92
	v_dual_add_f32 v87, v110, v144 :: v_dual_sub_f32 v110, v109, v143
	v_fma_f32 v93, -0.5, v111, v93
	v_dual_add_f32 v101, v94, v104 :: v_dual_add_f32 v170, v89, v146
	v_dual_add_f32 v107, v104, v105 :: v_dual_add_f32 v168, v106, v100
	v_add_f32_e32 v111, v95, v109
	v_dual_add_f32 v109, v109, v143 :: v_dual_sub_f32 v104, v104, v105
	v_add_f32_e32 v144, v88, v106
	v_sub_f32_e32 v106, v106, v100
	v_sub_f32_e32 v169, v146, v158
	v_add_f32_e32 v146, v146, v158
	v_fma_f32 v115, v96, v76, -v115
	v_dual_fmamk_f32 v96, v108, 0x3f5db3d7, v92 :: v_dual_fmac_f32 v145, v97, v76
	v_fma_f32 v157, v102, v78, -v157
	v_dual_fmac_f32 v159, v103, v78 :: v_dual_fmac_f32 v92, 0xbf5db3d7, v108
	v_fma_f32 v164, v98, v68, -v164
	v_fma_f32 v147, v147, v70, -v166
	v_dual_fmac_f32 v165, v99, v68 :: v_dual_add_f32 v98, v101, v105
	v_fmac_f32_e32 v167, v148, v70
	v_dual_fmamk_f32 v97, v114, 0xbf5db3d7, v93 :: v_dual_add_f32 v100, v144, v100
	v_fma_f32 v94, -0.5, v107, v94
	v_dual_add_f32 v99, v111, v143 :: v_dual_add_f32 v148, v84, v164
	v_fmac_f32_e32 v95, -0.5, v109
	v_fma_f32 v103, -0.5, v146, v89
	s_wait_loadcnt 0x0
	v_mul_f32_e32 v107, v81, v33
	v_dual_mul_f32 v108, v80, v33 :: v_dual_fmac_f32 v93, 0x3f5db3d7, v114
	v_dual_sub_f32 v144, v145, v159 :: v_dual_add_f32 v101, v170, v158
	v_dual_add_f32 v146, v91, v145 :: v_dual_mul_f32 v109, v113, v35
	v_mul_f32_e32 v111, v112, v35
	v_dual_add_f32 v114, v90, v115 :: v_dual_add_f32 v143, v115, v157
	v_sub_f32_e32 v166, v165, v167
	v_add_f32_e32 v145, v145, v159
	v_add_f32_e32 v158, v164, v147
	v_fma_f32 v102, -0.5, v168, v88
	v_sub_f32_e32 v115, v115, v157
	v_add_f32_e32 v168, v85, v165
	v_add_f32_e32 v165, v165, v167
	v_sub_f32_e32 v164, v164, v147
	v_fmamk_f32 v88, v110, 0x3f5db3d7, v94
	v_dual_fmac_f32 v94, 0xbf5db3d7, v110 :: v_dual_fmamk_f32 v89, v104, 0xbf5db3d7, v95
	v_fmac_f32_e32 v108, v81, v32
	v_fmac_f32_e32 v95, 0x3f5db3d7, v104
	v_fma_f32 v80, v80, v32, -v107
	v_fma_f32 v81, v112, v34, -v109
	v_fma_f32 v90, -0.5, v143, v90
	v_fmac_f32_e32 v111, v113, v34
	v_fma_f32 v84, -0.5, v158, v84
	v_dual_fmac_f32 v91, -0.5, v145 :: v_dual_fmamk_f32 v104, v169, 0x3f5db3d7, v102
	v_dual_fmamk_f32 v105, v106, 0xbf5db3d7, v103 :: v_dual_fmac_f32 v102, 0xbf5db3d7, v169
	v_fmac_f32_e32 v103, 0x3f5db3d7, v106
	ds_store_b64 v149, v[96:97] offset:3840
	ds_store_b64 v149, v[92:93] offset:7680
	ds_store_2addr_b64 v149, v[86:87], v[98:99] offset1:90
	v_add_f32_e32 v96, v114, v157
	v_add_f32_e32 v92, v148, v147
	ds_store_b64 v149, v[94:95] offset:8400
	ds_store_2addr_b64 v163, v[88:89], v[104:105] offset0:58 offset1:148
	v_fmamk_f32 v88, v144, 0x3f5db3d7, v90
	v_dual_fmac_f32 v90, 0xbf5db3d7, v144 :: v_dual_fmac_f32 v85, -0.5, v165
	v_add_f32_e32 v98, v108, v111
	v_fmamk_f32 v94, v166, 0x3f5db3d7, v84
	v_dual_fmamk_f32 v89, v115, 0xbf5db3d7, v91 :: v_dual_add_f32 v86, v80, v81
	v_dual_add_f32 v93, v168, v167 :: v_dual_add_f32 v104, v83, v108
	v_fmac_f32_e32 v91, 0x3f5db3d7, v115
	v_sub_f32_e32 v99, v108, v111
	s_delay_alu instid0(VALU_DEP_4)
	v_dual_add_f32 v87, v82, v80 :: v_dual_fmac_f32 v82, -0.5, v86
	v_sub_f32_e32 v105, v80, v81
	v_fmac_f32_e32 v83, -0.5, v98
	v_dual_add_f32 v97, v146, v159 :: v_dual_fmac_f32 v84, 0xbf5db3d7, v166
	v_fmamk_f32 v95, v164, 0xbf5db3d7, v85
	v_dual_fmac_f32 v85, 0x3f5db3d7, v164 :: v_dual_fmamk_f32 v80, v99, 0x3f5db3d7, v82
	v_fmac_f32_e32 v82, 0xbf5db3d7, v99
	v_dual_add_f32 v86, v87, v81 :: v_dual_add_f32 v87, v104, v111
	v_fmamk_f32 v81, v105, 0xbf5db3d7, v83
	v_fmac_f32_e32 v83, 0x3f5db3d7, v105
	ds_store_2addr_b64 v162, v[100:101], v[96:97] offset0:52 offset1:142
	ds_store_2addr_b64 v161, v[102:103], v[90:91] offset0:116 offset1:206
	;; [unrolled: 1-line block ×3, first 2 shown]
	ds_store_b64 v149, v[92:93] offset:2880
	ds_store_b64 v149, v[84:85] offset:10560
	s_and_saveexec_b32 s1, s0
	s_cbranch_execz .LBB0_15
; %bb.14:
	ds_store_b64 v149, v[86:87] offset:3600
	ds_store_b64 v149, v[80:81] offset:7440
	;; [unrolled: 1-line block ×3, first 2 shown]
.LBB0_15:
	s_wait_alu 0xfffe
	s_or_b32 exec_lo, exec_lo, s1
	v_lshlrev_b32_e32 v96, 3, v119
	s_add_nc_u64 s[2:3], s[12:13], 0x2d00
	global_wb scope:SCOPE_SE
	s_wait_dscnt 0x0
	s_barrier_signal -1
	s_barrier_wait -1
	global_inv scope:SCOPE_SE
	s_clause 0x9
	global_load_b64 v[101:102], v[116:117], off offset:11520
	global_load_b64 v[103:104], v96, s[2:3] offset:1152
	global_load_b64 v[147:148], v96, s[2:3] offset:2304
	;; [unrolled: 1-line block ×9, first 2 shown]
	ds_load_2addr_b64 v[97:100], v149 offset1:144
	s_wait_loadcnt_dscnt 0x900
	v_mul_f32_e32 v105, v97, v102
	s_wait_loadcnt 0x8
	v_dual_mul_f32 v106, v98, v102 :: v_dual_mul_f32 v107, v99, v104
	s_delay_alu instid0(VALU_DEP_2) | instskip(NEXT) | instid1(VALU_DEP_2)
	v_dual_mul_f32 v102, v100, v104 :: v_dual_fmac_f32 v105, v98, v101
	v_fma_f32 v104, v97, v101, -v106
	s_delay_alu instid0(VALU_DEP_3) | instskip(NEXT) | instid1(VALU_DEP_3)
	v_fmac_f32_e32 v107, v100, v103
	v_fma_f32 v106, v99, v103, -v102
	v_add_nc_u32_e32 v102, 0x1800, v149
	v_add_nc_u32_e32 v103, 0x800, v149
	ds_store_2addr_b64 v149, v[104:105], v[106:107] offset1:144
	ds_load_2addr_b64 v[104:107], v103 offset0:32 offset1:176
	v_add_nc_u32_e32 v101, 0x1000, v149
	s_wait_loadcnt_dscnt 0x700
	v_dual_mul_f32 v97, v105, v148 :: v_dual_add_nc_u32 v100, 0x2400, v149
	v_mul_f32_e32 v98, v104, v148
	s_wait_loadcnt 0x6
	v_mul_f32_e32 v148, v106, v158
	ds_load_2addr_b64 v[108:111], v101 offset0:64 offset1:208
	ds_load_2addr_b64 v[112:115], v102 offset0:96 offset1:240
	ds_load_2addr_b64 v[143:146], v100 offset1:144
	v_mul_f32_e32 v99, v107, v158
	v_fma_f32 v97, v104, v147, -v97
	v_fmac_f32_e32 v98, v105, v147
	v_fmac_f32_e32 v148, v107, v157
	s_wait_loadcnt_dscnt 0x502
	v_mul_f32_e32 v158, v108, v160
	s_wait_loadcnt 0x4
	v_dual_mul_f32 v171, v109, v160 :: v_dual_mul_f32 v172, v111, v162
	s_wait_loadcnt_dscnt 0x301
	v_dual_mul_f32 v160, v110, v162 :: v_dual_mul_f32 v173, v113, v164
	v_mul_f32_e32 v162, v112, v164
	s_wait_loadcnt_dscnt 0x100
	v_dual_mul_f32 v174, v115, v166 :: v_dual_mul_f32 v175, v144, v168
	v_mul_f32_e32 v164, v114, v166
	v_mul_f32_e32 v166, v143, v168
	s_wait_loadcnt 0x0
	v_mul_f32_e32 v176, v146, v170
	v_mul_f32_e32 v168, v145, v170
	v_fma_f32 v147, v106, v157, -v99
	v_fma_f32 v157, v108, v159, -v171
	v_fmac_f32_e32 v158, v109, v159
	v_fma_f32 v159, v110, v161, -v172
	v_fmac_f32_e32 v160, v111, v161
	;; [unrolled: 2-line block ×6, first 2 shown]
	ds_store_2addr_b64 v103, v[97:98], v[147:148] offset0:32 offset1:176
	ds_store_2addr_b64 v101, v[157:158], v[159:160] offset0:64 offset1:208
	;; [unrolled: 1-line block ×3, first 2 shown]
	ds_store_2addr_b64 v100, v[165:166], v[167:168] offset1:144
	s_and_saveexec_b32 s1, vcc_lo
	s_cbranch_execz .LBB0_17
; %bb.16:
	s_wait_alu 0xfffe
	v_add_co_u32 v96, s2, s2, v96
	s_wait_alu 0xf1ff
	v_add_co_ci_u32_e64 v97, null, s3, 0, s2
	s_clause 0x9
	global_load_b64 v[147:148], v[96:97], off offset:720
	global_load_b64 v[157:158], v[96:97], off offset:1872
	;; [unrolled: 1-line block ×10, first 2 shown]
	ds_load_2addr_b64 v[96:99], v149 offset0:90 offset1:234
	v_add_nc_u32_e32 v176, 0xa00, v149
	v_add_nc_u32_e32 v177, 0x1400, v149
	s_wait_loadcnt_dscnt 0x900
	v_dual_mul_f32 v175, v96, v148 :: v_dual_add_nc_u32 v178, 0x1c00, v149
	v_mul_f32_e32 v179, v97, v148
	ds_load_2addr_b64 v[104:107], v176 offset0:58 offset1:202
	s_wait_loadcnt 0x8
	v_mul_f32_e32 v180, v99, v158
	ds_load_2addr_b64 v[108:111], v177 offset0:26 offset1:170
	ds_load_2addr_b64 v[112:115], v178 offset0:58 offset1:202
	;; [unrolled: 1-line block ×3, first 2 shown]
	v_dual_mul_f32 v148, v98, v158 :: v_dual_fmac_f32 v175, v97, v147
	s_wait_loadcnt_dscnt 0x703
	v_mul_f32_e32 v181, v105, v160
	v_mul_f32_e32 v158, v104, v160
	s_wait_loadcnt_dscnt 0x502
	v_dual_mul_f32 v182, v107, v162 :: v_dual_mul_f32 v183, v109, v164
	s_wait_loadcnt_dscnt 0x301
	v_dual_mul_f32 v160, v106, v162 :: v_dual_mul_f32 v185, v113, v168
	v_mul_f32_e32 v162, v108, v164
	s_wait_loadcnt_dscnt 0x100
	v_dual_mul_f32 v184, v111, v166 :: v_dual_mul_f32 v187, v144, v172
	v_mul_f32_e32 v164, v110, v166
	v_mul_f32_e32 v166, v112, v168
	;; [unrolled: 1-line block ×5, first 2 shown]
	s_wait_loadcnt 0x0
	v_mul_f32_e32 v188, v146, v174
	v_mul_f32_e32 v172, v145, v174
	v_fma_f32 v174, v96, v147, -v179
	v_fma_f32 v147, v98, v157, -v180
	v_fmac_f32_e32 v148, v99, v157
	v_fma_f32 v157, v104, v159, -v181
	v_fmac_f32_e32 v158, v105, v159
	;; [unrolled: 2-line block ×9, first 2 shown]
	ds_store_2addr_b64 v149, v[174:175], v[147:148] offset0:90 offset1:234
	ds_store_2addr_b64 v176, v[157:158], v[159:160] offset0:58 offset1:202
	;; [unrolled: 1-line block ×5, first 2 shown]
.LBB0_17:
	s_wait_alu 0xfffe
	s_or_b32 exec_lo, exec_lo, s1
	global_wb scope:SCOPE_SE
	s_wait_dscnt 0x0
	s_barrier_signal -1
	s_barrier_wait -1
	global_inv scope:SCOPE_SE
	ds_load_2addr_b64 v[96:99], v149 offset1:144
	ds_load_2addr_b64 v[112:115], v103 offset0:32 offset1:176
	ds_load_2addr_b64 v[108:111], v101 offset0:64 offset1:208
	ds_load_2addr_b64 v[104:107], v102 offset0:96 offset1:240
	ds_load_2addr_b64 v[100:103], v100 offset1:144
	s_and_saveexec_b32 s1, vcc_lo
	s_cbranch_execz .LBB0_19
; %bb.18:
	v_add_nc_u32_e32 v12, 0xa00, v149
	v_add_nc_u32_e32 v13, 0x1400, v149
	;; [unrolled: 1-line block ×4, first 2 shown]
	ds_load_2addr_b64 v[88:91], v149 offset0:90 offset1:234
	ds_load_2addr_b64 v[92:95], v12 offset0:58 offset1:202
	;; [unrolled: 1-line block ×5, first 2 shown]
.LBB0_19:
	s_wait_alu 0xfffe
	s_or_b32 exec_lo, exec_lo, s1
	s_wait_dscnt 0x1
	v_dual_add_f32 v143, v108, v104 :: v_dual_sub_f32 v146, v109, v105
	s_wait_dscnt 0x0
	v_dual_add_f32 v144, v96, v112 :: v_dual_sub_f32 v145, v113, v101
	v_add_f32_e32 v157, v112, v100
	s_delay_alu instid0(VALU_DEP_3) | instskip(SKIP_2) | instid1(VALU_DEP_3)
	v_fma_f32 v143, -0.5, v143, v96
	v_dual_sub_f32 v147, v112, v108 :: v_dual_add_f32 v160, v97, v113
	v_sub_f32_e32 v148, v100, v104
	v_dual_add_f32 v144, v144, v108 :: v_dual_fmamk_f32 v159, v145, 0xbf737871, v143
	v_fmac_f32_e32 v143, 0x3f737871, v145
	v_fma_f32 v96, -0.5, v157, v96
	v_sub_f32_e32 v158, v108, v112
	v_add_f32_e32 v147, v147, v148
	v_dual_add_f32 v144, v144, v104 :: v_dual_fmac_f32 v159, 0xbf167918, v146
	s_delay_alu instid0(VALU_DEP_4) | instskip(SKIP_2) | instid1(VALU_DEP_3)
	v_dual_fmamk_f32 v157, v146, 0x3f737871, v96 :: v_dual_sub_f32 v148, v104, v100
	v_fmac_f32_e32 v143, 0x3f167918, v146
	v_dual_add_f32 v161, v109, v105 :: v_dual_fmac_f32 v96, 0xbf737871, v146
	v_dual_fmac_f32 v157, 0xbf167918, v145 :: v_dual_add_f32 v148, v158, v148
	v_add_f32_e32 v146, v160, v109
	v_dual_add_f32 v144, v144, v100 :: v_dual_fmac_f32 v159, 0x3e9e377a, v147
	s_delay_alu instid0(VALU_DEP_4) | instskip(SKIP_1) | instid1(VALU_DEP_4)
	v_fma_f32 v186, -0.5, v161, v97
	v_dual_sub_f32 v100, v112, v100 :: v_dual_fmac_f32 v143, 0x3e9e377a, v147
	v_dual_add_f32 v112, v146, v105 :: v_dual_fmac_f32 v157, 0x3e9e377a, v148
	v_add_f32_e32 v146, v113, v101
	v_dual_sub_f32 v104, v108, v104 :: v_dual_sub_f32 v147, v101, v105
	v_fmac_f32_e32 v96, 0x3f167918, v145
	v_dual_fmamk_f32 v145, v100, 0x3f737871, v186 :: v_dual_sub_f32 v108, v113, v109
	s_delay_alu instid0(VALU_DEP_4) | instskip(SKIP_1) | instid1(VALU_DEP_3)
	v_fma_f32 v97, -0.5, v146, v97
	v_dual_fmac_f32 v186, 0xbf737871, v100 :: v_dual_sub_f32 v109, v109, v113
	v_dual_fmac_f32 v145, 0x3f167918, v104 :: v_dual_add_f32 v108, v108, v147
	v_add_f32_e32 v112, v112, v101
	v_sub_f32_e32 v101, v105, v101
	v_dual_add_f32 v105, v98, v114 :: v_dual_fmac_f32 v96, 0x3e9e377a, v148
	v_fmamk_f32 v146, v104, 0xbf737871, v97
	v_fmac_f32_e32 v186, 0xbf167918, v104
	s_delay_alu instid0(VALU_DEP_3) | instskip(SKIP_1) | instid1(VALU_DEP_4)
	v_dual_fmac_f32 v97, 0x3f737871, v104 :: v_dual_add_f32 v104, v105, v110
	v_add_f32_e32 v105, v110, v106
	v_dual_add_f32 v101, v109, v101 :: v_dual_fmac_f32 v146, 0x3f167918, v100
	s_delay_alu instid0(VALU_DEP_3) | instskip(NEXT) | instid1(VALU_DEP_3)
	v_dual_fmac_f32 v97, 0xbf167918, v100 :: v_dual_add_f32 v100, v104, v106
	v_fma_f32 v104, -0.5, v105, v98
	v_add_f32_e32 v105, v114, v102
	v_fmac_f32_e32 v145, 0x3e9e377a, v108
	s_delay_alu instid0(VALU_DEP_4)
	v_dual_fmac_f32 v186, 0x3e9e377a, v108 :: v_dual_fmac_f32 v97, 0x3e9e377a, v101
	v_dual_fmac_f32 v146, 0x3e9e377a, v101 :: v_dual_sub_f32 v101, v111, v107
	v_dual_sub_f32 v108, v115, v103 :: v_dual_sub_f32 v109, v114, v110
	v_fma_f32 v98, -0.5, v105, v98
	v_add_f32_e32 v100, v100, v102
	v_sub_f32_e32 v113, v102, v106
	s_delay_alu instid0(VALU_DEP_4) | instskip(SKIP_2) | instid1(VALU_DEP_3)
	v_dual_fmamk_f32 v105, v108, 0xbf737871, v104 :: v_dual_sub_f32 v148, v110, v114
	v_fmac_f32_e32 v104, 0x3f737871, v108
	v_dual_fmamk_f32 v147, v101, 0x3f737871, v98 :: v_dual_sub_f32 v158, v106, v102
	v_fmac_f32_e32 v105, 0xbf167918, v101
	v_fmac_f32_e32 v98, 0xbf737871, v101
	s_delay_alu instid0(VALU_DEP_4) | instskip(NEXT) | instid1(VALU_DEP_4)
	v_fmac_f32_e32 v104, 0x3f167918, v101
	v_fmac_f32_e32 v147, 0xbf167918, v108
	v_add_f32_e32 v101, v111, v107
	s_delay_alu instid0(VALU_DEP_4) | instskip(SKIP_1) | instid1(VALU_DEP_3)
	v_dual_add_f32 v109, v109, v113 :: v_dual_fmac_f32 v98, 0x3f167918, v108
	v_dual_add_f32 v113, v148, v158 :: v_dual_add_f32 v108, v115, v103
	v_fma_f32 v101, -0.5, v101, v99
	s_delay_alu instid0(VALU_DEP_3) | instskip(SKIP_1) | instid1(VALU_DEP_4)
	v_dual_fmac_f32 v105, 0x3e9e377a, v109 :: v_dual_sub_f32 v102, v114, v102
	v_dual_fmac_f32 v104, 0x3e9e377a, v109 :: v_dual_add_f32 v109, v99, v115
	v_dual_fmac_f32 v147, 0x3e9e377a, v113 :: v_dual_sub_f32 v106, v110, v106
	v_dual_fmac_f32 v99, -0.5, v108 :: v_dual_fmac_f32 v98, 0x3e9e377a, v113
	s_delay_alu instid0(VALU_DEP_4) | instskip(SKIP_1) | instid1(VALU_DEP_3)
	v_dual_fmamk_f32 v108, v102, 0x3f737871, v101 :: v_dual_sub_f32 v113, v103, v107
	v_sub_f32_e32 v110, v115, v111
	v_dual_fmamk_f32 v114, v106, 0xbf737871, v99 :: v_dual_sub_f32 v115, v111, v115
	v_dual_fmac_f32 v99, 0x3f737871, v106 :: v_dual_sub_f32 v148, v107, v103
	s_delay_alu instid0(VALU_DEP_3) | instskip(NEXT) | instid1(VALU_DEP_3)
	v_dual_add_f32 v110, v110, v113 :: v_dual_fmac_f32 v101, 0xbf737871, v102
	v_dual_fmac_f32 v114, 0x3f167918, v102 :: v_dual_add_f32 v167, v144, v100
	s_delay_alu instid0(VALU_DEP_3) | instskip(NEXT) | instid1(VALU_DEP_4)
	v_fmac_f32_e32 v99, 0xbf167918, v102
	v_dual_fmac_f32 v108, 0x3f167918, v106 :: v_dual_add_f32 v113, v115, v148
	v_add_f32_e32 v102, v109, v111
	v_dual_sub_f32 v160, v86, v82 :: v_dual_sub_f32 v165, v83, v15
	s_delay_alu instid0(VALU_DEP_3) | instskip(NEXT) | instid1(VALU_DEP_3)
	v_dual_sub_f32 v166, v82, v14 :: v_dual_fmac_f32 v99, 0x3e9e377a, v113
	v_dual_fmac_f32 v101, 0xbf167918, v106 :: v_dual_add_f32 v102, v102, v107
	v_dual_fmac_f32 v114, 0x3e9e377a, v113 :: v_dual_sub_f32 v113, v95, v87
	global_wb scope:SCOPE_SE
	v_dual_fmac_f32 v101, 0x3e9e377a, v110 :: v_dual_add_f32 v102, v102, v103
	v_mul_f32_e32 v107, 0xbf737871, v114
	v_fmac_f32_e32 v108, 0x3e9e377a, v110
	v_mul_f32_e32 v109, 0xbf737871, v99
	s_delay_alu instid0(VALU_DEP_4) | instskip(NEXT) | instid1(VALU_DEP_4)
	v_dual_mul_f32 v103, 0xbf167918, v101 :: v_dual_add_f32 v168, v112, v102
	v_fmac_f32_e32 v107, 0x3e9e377a, v147
	s_delay_alu instid0(VALU_DEP_4) | instskip(SKIP_3) | instid1(VALU_DEP_4)
	v_mul_f32_e32 v106, 0xbf167918, v108
	v_dual_mul_f32 v99, 0xbe9e377a, v99 :: v_dual_sub_f32 v178, v112, v102
	v_mul_f32_e32 v187, 0xbf4f1bbd, v101
	v_sub_f32_e32 v112, v85, v81
	v_dual_fmac_f32 v106, 0x3f4f1bbd, v105 :: v_dual_add_f32 v171, v157, v107
	v_mul_f32_e32 v105, 0x3f167918, v105
	v_dual_fmac_f32 v99, 0x3f737871, v98 :: v_dual_sub_f32 v110, v93, v13
	s_delay_alu instid0(VALU_DEP_3) | instskip(SKIP_1) | instid1(VALU_DEP_4)
	v_sub_f32_e32 v179, v159, v106
	v_sub_f32_e32 v115, v95, v15
	v_fmac_f32_e32 v105, 0x3f4f1bbd, v108
	v_dual_mul_f32 v111, 0x3e9e377a, v114 :: v_dual_sub_f32 v114, v92, v12
	v_add_f32_e32 v108, v86, v82
	s_barrier_signal -1
	s_delay_alu instid0(VALU_DEP_2)
	v_dual_sub_f32 v180, v145, v105 :: v_dual_fmac_f32 v111, 0x3f737871, v147
	v_add_f32_e32 v169, v159, v106
	v_sub_f32_e32 v147, v87, v83
	v_sub_f32_e32 v159, v94, v14
	;; [unrolled: 1-line block ×3, first 2 shown]
	v_add_f32_e32 v172, v146, v111
	v_dual_sub_f32 v182, v146, v111 :: v_dual_fmac_f32 v109, 0xbe9e377a, v98
	v_add_f32_e32 v170, v145, v105
	v_dual_add_f32 v98, v80, v84 :: v_dual_sub_f32 v105, v13, v81
	v_add_f32_e32 v111, v15, v95
	s_delay_alu instid0(VALU_DEP_4)
	v_add_f32_e32 v173, v96, v109
	v_sub_f32_e32 v183, v96, v109
	v_add_f32_e32 v96, v12, v92
	v_fmac_f32_e32 v187, 0x3f167918, v104
	v_fmac_f32_e32 v103, 0xbf4f1bbd, v104
	v_fma_f32 v101, -0.5, v98, v88
	v_sub_f32_e32 v177, v144, v100
	v_sub_f32_e32 v98, v12, v80
	v_add_f32_e32 v176, v186, v187
	v_add_f32_e32 v175, v143, v103
	v_sub_f32_e32 v185, v143, v103
	v_fma_f32 v103, -0.5, v96, v88
	v_sub_f32_e32 v181, v157, v107
	v_add_f32_e32 v96, v81, v85
	v_add_f32_e32 v174, v97, v99
	v_sub_f32_e32 v184, v97, v99
	v_fmamk_f32 v102, v112, 0x3f737871, v103
	v_sub_f32_e32 v97, v92, v84
	v_dual_sub_f32 v144, v84, v80 :: v_dual_add_f32 v99, v13, v93
	v_fma_f32 v106, -0.5, v96, v89
	s_delay_alu instid0(VALU_DEP_3)
	v_dual_fmac_f32 v102, 0xbf167918, v110 :: v_dual_add_f32 v145, v98, v97
	v_sub_f32_e32 v96, v84, v92
	v_sub_f32_e32 v98, v93, v85
	v_fma_f32 v107, -0.5, v99, v89
	v_dual_fmamk_f32 v100, v110, 0xbf737871, v101 :: v_dual_sub_f32 v97, v80, v12
	v_fmamk_f32 v104, v114, 0x3f737871, v106
	s_delay_alu instid0(VALU_DEP_3)
	v_dual_add_f32 v158, v105, v98 :: v_dual_fmamk_f32 v105, v144, 0xbf737871, v107
	v_fma_f32 v143, -0.5, v108, v90
	v_add_f32_e32 v98, v14, v94
	v_fmac_f32_e32 v100, 0xbf167918, v112
	v_add_f32_e32 v157, v97, v96
	v_fmac_f32_e32 v104, 0x3f167918, v144
	v_dual_fmamk_f32 v96, v115, 0xbf737871, v143 :: v_dual_sub_f32 v99, v81, v13
	v_dual_fmac_f32 v105, 0x3f167918, v114 :: v_dual_add_f32 v108, v87, v83
	v_fma_f32 v148, -0.5, v111, v91
	s_delay_alu instid0(VALU_DEP_3)
	v_fmac_f32_e32 v96, 0xbf167918, v147
	v_fma_f32 v146, -0.5, v98, v90
	v_sub_f32_e32 v164, v87, v95
	v_fma_f32 v162, -0.5, v108, v91
	v_dual_sub_f32 v108, v86, v94 :: v_dual_fmamk_f32 v189, v160, 0xbf737871, v148
	v_sub_f32_e32 v98, v14, v82
	v_dual_fmamk_f32 v188, v147, 0x3f737871, v146 :: v_dual_add_f32 v163, v161, v113
	s_delay_alu instid0(VALU_DEP_4) | instskip(NEXT) | instid1(VALU_DEP_4)
	v_fmamk_f32 v111, v159, 0x3f737871, v162
	v_fmac_f32_e32 v189, 0x3f167918, v159
	s_delay_alu instid0(VALU_DEP_3)
	v_dual_add_f32 v161, v165, v164 :: v_dual_fmac_f32 v188, 0xbf167918, v115
	v_fmac_f32_e32 v100, 0x3e9e377a, v145
	v_dual_fmac_f32 v102, 0x3e9e377a, v157 :: v_dual_sub_f32 v109, v94, v86
	v_dual_fmac_f32 v104, 0x3e9e377a, v158 :: v_dual_sub_f32 v97, v85, v93
	v_fmac_f32_e32 v111, 0x3f167918, v160
	v_dual_add_f32 v164, v166, v108 :: v_dual_fmac_f32 v189, 0x3e9e377a, v161
	v_sub_f32_e32 v186, v186, v187
	v_add_f32_e32 v165, v98, v109
	v_add_f32_e32 v166, v99, v97
	s_delay_alu instid0(VALU_DEP_4) | instskip(SKIP_1) | instid1(VALU_DEP_3)
	v_dual_fmac_f32 v188, 0x3e9e377a, v164 :: v_dual_fmac_f32 v111, 0x3e9e377a, v163
	v_mul_f32_e32 v113, 0x3e9e377a, v189
	v_dual_fmac_f32 v96, 0x3e9e377a, v165 :: v_dual_fmac_f32 v105, 0x3e9e377a, v166
	s_barrier_wait -1
	global_inv scope:SCOPE_SE
	v_fmac_f32_e32 v113, 0x3f737871, v188
	v_mul_f32_e32 v108, 0xbf167918, v111
	ds_store_b128 v153, v[167:170]
	ds_store_b128 v153, v[171:174] offset:16
	ds_store_b128 v153, v[175:178] offset:32
	;; [unrolled: 1-line block ×4, first 2 shown]
	v_sub_f32_e32 v99, v105, v113
	v_dual_mul_f32 v111, 0x3f4f1bbd, v111 :: v_dual_fmac_f32 v108, 0x3f4f1bbd, v96
	v_mul_f32_e32 v109, 0xbf737871, v189
	s_delay_alu instid0(VALU_DEP_2) | instskip(NEXT) | instid1(VALU_DEP_3)
	v_fmac_f32_e32 v111, 0x3f167918, v96
	v_sub_f32_e32 v96, v100, v108
	s_delay_alu instid0(VALU_DEP_3) | instskip(NEXT) | instid1(VALU_DEP_1)
	v_fmac_f32_e32 v109, 0x3e9e377a, v188
	v_dual_sub_f32 v97, v104, v111 :: v_dual_sub_f32 v98, v102, v109
	s_and_saveexec_b32 s1, vcc_lo
	s_cbranch_execz .LBB0_21
; %bb.20:
	v_dual_mul_f32 v170, 0x3f737871, v159 :: v_dual_add_f32 v89, v93, v89
	v_dual_mul_f32 v168, 0x3f737871, v114 :: v_dual_mul_f32 v171, 0x3f737871, v115
	v_dual_mul_f32 v172, 0x3f167918, v147 :: v_dual_mul_f32 v173, 0x3f167918, v160
	s_delay_alu instid0(VALU_DEP_3) | instskip(SKIP_1) | instid1(VALU_DEP_4)
	v_dual_sub_f32 v162, v162, v170 :: v_dual_mul_f32 v165, 0x3e9e377a, v165
	v_mul_f32_e32 v163, 0x3e9e377a, v163
	v_dual_add_f32 v143, v171, v143 :: v_dual_mul_f32 v164, 0x3e9e377a, v164
	s_delay_alu instid0(VALU_DEP_3) | instskip(NEXT) | instid1(VALU_DEP_2)
	v_dual_sub_f32 v162, v162, v173 :: v_dual_mul_f32 v169, 0x3f167918, v144
	v_dual_mul_f32 v114, 0x3f167918, v114 :: v_dual_add_f32 v143, v172, v143
	v_dual_mul_f32 v144, 0x3f737871, v144 :: v_dual_mul_f32 v147, 0x3f737871, v147
	s_delay_alu instid0(VALU_DEP_3) | instskip(NEXT) | instid1(VALU_DEP_3)
	v_add_f32_e32 v162, v163, v162
	v_dual_mul_f32 v160, 0x3f737871, v160 :: v_dual_add_f32 v143, v165, v143
	v_dual_mul_f32 v115, 0x3f167918, v115 :: v_dual_sub_f32 v106, v106, v168
	v_mul_f32_e32 v159, 0x3f167918, v159
	s_delay_alu instid0(VALU_DEP_3) | instskip(SKIP_1) | instid1(VALU_DEP_4)
	v_dual_mul_f32 v163, 0xbf4f1bbd, v162 :: v_dual_add_f32 v148, v160, v148
	v_dual_sub_f32 v146, v146, v147 :: v_dual_add_f32 v85, v85, v89
	v_sub_f32_e32 v106, v106, v169
	s_delay_alu instid0(VALU_DEP_3) | instskip(SKIP_3) | instid1(VALU_DEP_4)
	v_dual_mul_f32 v160, 0x3e9e377a, v161 :: v_dual_sub_f32 v147, v148, v159
	v_add_f32_e32 v91, v95, v91
	v_mul_f32_e32 v153, 0x3f737871, v110
	v_dual_mul_f32 v167, 0x3f167918, v112 :: v_dual_mul_f32 v110, 0x3f167918, v110
	v_dual_mul_f32 v112, 0x3f737871, v112 :: v_dual_add_f32 v95, v160, v147
	s_delay_alu instid0(VALU_DEP_4) | instskip(SKIP_3) | instid1(VALU_DEP_4)
	v_add_f32_e32 v87, v87, v91
	v_add_f32_e32 v81, v81, v85
	;; [unrolled: 1-line block ×3, first 2 shown]
	v_dual_mul_f32 v145, 0x3e9e377a, v145 :: v_dual_mul_f32 v158, 0x3e9e377a, v158
	v_add_f32_e32 v83, v83, v87
	s_delay_alu instid0(VALU_DEP_4) | instskip(SKIP_4) | instid1(VALU_DEP_3)
	v_add_f32_e32 v81, v13, v81
	v_add_f32_e32 v13, v92, v88
	;; [unrolled: 1-line block ×3, first 2 shown]
	v_dual_add_f32 v107, v115, v146 :: v_dual_add_f32 v90, v153, v101
	v_dual_mul_f32 v157, 0x3e9e377a, v157 :: v_dual_mul_f32 v166, 0x3e9e377a, v166
	v_dual_add_f32 v13, v84, v13 :: v_dual_add_f32 v84, v86, v87
	v_sub_f32_e32 v86, v103, v112
	s_delay_alu instid0(VALU_DEP_4) | instskip(SKIP_1) | instid1(VALU_DEP_4)
	v_add_f32_e32 v87, v167, v90
	v_dual_add_f32 v106, v158, v106 :: v_dual_fmac_f32 v163, 0x3f167918, v143
	v_dual_add_f32 v13, v80, v13 :: v_dual_add_f32 v80, v82, v84
	s_delay_alu instid0(VALU_DEP_4) | instskip(SKIP_1) | instid1(VALU_DEP_3)
	v_dual_mul_f32 v91, 0xbe9e377a, v95 :: v_dual_add_f32 v84, v110, v86
	v_mul_f32_e32 v86, 0x3f737871, v95
	v_add_f32_e32 v12, v12, v13
	s_delay_alu instid0(VALU_DEP_4) | instskip(SKIP_3) | instid1(VALU_DEP_4)
	v_dual_add_f32 v80, v14, v80 :: v_dual_sub_f32 v89, v93, v114
	v_add_f32_e32 v88, v15, v83
	v_dual_add_f32 v93, v164, v107 :: v_dual_mul_f32 v82, 0x3f167918, v162
	v_add_f32_e32 v95, v157, v84
	v_dual_add_f32 v89, v166, v89 :: v_dual_add_f32 v94, v145, v87
	s_delay_alu instid0(VALU_DEP_3) | instskip(SKIP_3) | instid1(VALU_DEP_4)
	v_dual_fmac_f32 v91, 0x3f737871, v93 :: v_dual_add_f32 v92, v100, v108
	v_fma_f32 v101, 0xbe9e377a, v93, -v86
	v_fma_f32 v82, 0xbf4f1bbd, v143, -v82
	v_dual_sub_f32 v85, v106, v163 :: v_dual_sub_f32 v14, v12, v80
	v_dual_sub_f32 v83, v89, v91 :: v_dual_add_f32 v86, v102, v109
	v_add_f32_e32 v89, v89, v91
	v_add_f32_e32 v93, v104, v111
	;; [unrolled: 1-line block ×3, first 2 shown]
	v_dual_add_f32 v91, v88, v81 :: v_dual_lshlrev_b32 v80, 3, v151
	v_dual_sub_f32 v15, v81, v88 :: v_dual_sub_f32 v84, v94, v82
	v_add_f32_e32 v87, v105, v113
	v_dual_add_f32 v88, v95, v101 :: v_dual_add_f32 v13, v106, v163
	v_add_f32_e32 v12, v94, v82
	v_sub_f32_e32 v82, v95, v101
	ds_store_b128 v80, v[90:93]
	ds_store_b128 v80, v[86:89] offset:16
	ds_store_b128 v80, v[12:15] offset:32
	;; [unrolled: 1-line block ×4, first 2 shown]
.LBB0_21:
	s_wait_alu 0xfffe
	s_or_b32 exec_lo, exec_lo, s1
	global_wb scope:SCOPE_SE
	s_wait_dscnt 0x0
	s_barrier_signal -1
	s_barrier_wait -1
	global_inv scope:SCOPE_SE
	ds_load_2addr_b64 v[12:15], v149 offset1:90
	v_add_nc_u32_e32 v112, 0x400, v149
	s_wait_dscnt 0x0
	v_dual_mul_f32 v144, v29, v15 :: v_dual_add_nc_u32 v113, 0x800, v149
	v_mul_f32_e32 v29, v29, v14
	ds_load_2addr_b64 v[80:83], v112 offset0:52 offset1:142
	ds_load_2addr_b64 v[84:87], v113 offset0:104 offset1:194
	v_add_nc_u32_e32 v114, 0x1000, v149
	v_dual_fmac_f32 v144, v28, v14 :: v_dual_add_nc_u32 v115, 0x1400, v149
	v_fma_f32 v14, v28, v15, -v29
	v_add_nc_u32_e32 v100, 0x1800, v149
	s_wait_dscnt 0x1
	v_dual_mul_f32 v28, v31, v80 :: v_dual_add_nc_u32 v143, 0x2000, v149
	v_mul_f32_e32 v29, v21, v83
	ds_load_2addr_b64 v[88:91], v114 offset0:28 offset1:118
	ds_load_2addr_b64 v[92:95], v115 offset0:80 offset1:170
	v_mul_f32_e32 v15, v31, v81
	v_dual_mul_f32 v21, v21, v82 :: v_dual_add_nc_u32 v108, 0x2400, v149
	s_wait_dscnt 0x2
	v_mul_f32_e32 v31, v23, v85
	v_fma_f32 v28, v30, v81, -v28
	v_fmac_f32_e32 v15, v30, v80
	ds_load_2addr_b64 v[100:103], v100 offset0:132 offset1:222
	ds_load_2addr_b64 v[104:107], v143 offset0:56 offset1:146
	;; [unrolled: 1-line block ×3, first 2 shown]
	v_fmac_f32_e32 v29, v20, v82
	v_mul_f32_e32 v23, v23, v84
	v_fma_f32 v20, v20, v83, -v21
	v_mul_f32_e32 v21, v9, v87
	v_mul_f32_e32 v9, v9, v86
	v_fmac_f32_e32 v31, v22, v84
	v_fma_f32 v22, v22, v85, -v23
	global_wb scope:SCOPE_SE
	s_wait_dscnt 0x0
	v_fmac_f32_e32 v21, v8, v86
	v_fma_f32 v8, v8, v87, -v9
	s_barrier_signal -1
	v_mul_f32_e32 v23, v11, v89
	v_mul_f32_e32 v30, v3, v93
	;; [unrolled: 1-line block ×3, first 2 shown]
	s_barrier_wait -1
	global_inv scope:SCOPE_SE
	v_fmac_f32_e32 v30, v2, v92
	v_fma_f32 v2, v2, v93, -v3
	v_mul_f32_e32 v9, v11, v88
	v_mul_f32_e32 v11, v1, v91
	v_mul_f32_e32 v1, v1, v90
	s_delay_alu instid0(VALU_DEP_4) | instskip(NEXT) | instid1(VALU_DEP_4)
	v_sub_f32_e32 v2, v13, v2
	v_fma_f32 v9, v10, v89, -v9
	v_dual_fmac_f32 v23, v10, v88 :: v_dual_mul_f32 v10, v25, v94
	v_fmac_f32_e32 v11, v0, v90
	v_fma_f32 v0, v0, v91, -v1
	v_mul_f32_e32 v1, v25, v95
	v_mul_f32_e32 v25, v27, v100
	v_fma_f32 v10, v24, v95, -v10
	v_fma_f32 v13, v13, 2.0, -v2
	s_delay_alu instid0(VALU_DEP_3) | instskip(NEXT) | instid1(VALU_DEP_1)
	v_fma_f32 v25, v26, v101, -v25
	v_dual_sub_f32 v10, v14, v10 :: v_dual_sub_f32 v25, v28, v25
	s_delay_alu instid0(VALU_DEP_1) | instskip(SKIP_2) | instid1(VALU_DEP_4)
	v_fma_f32 v14, v14, 2.0, -v10
	v_dual_fmac_f32 v1, v24, v94 :: v_dual_mul_f32 v24, v17, v103
	v_mul_f32_e32 v17, v17, v102
	v_fma_f32 v28, v28, 2.0, -v25
	s_delay_alu instid0(VALU_DEP_3) | instskip(NEXT) | instid1(VALU_DEP_3)
	v_fmac_f32_e32 v24, v16, v102
	v_fma_f32 v16, v16, v103, -v17
	s_delay_alu instid0(VALU_DEP_2) | instskip(NEXT) | instid1(VALU_DEP_2)
	v_dual_mul_f32 v3, v27, v101 :: v_dual_sub_f32 v24, v29, v24
	v_sub_f32_e32 v16, v20, v16
	s_delay_alu instid0(VALU_DEP_2) | instskip(NEXT) | instid1(VALU_DEP_3)
	v_dual_fmac_f32 v3, v26, v100 :: v_dual_mul_f32 v26, v19, v105
	v_fma_f32 v29, v29, 2.0, -v24
	s_delay_alu instid0(VALU_DEP_3) | instskip(NEXT) | instid1(VALU_DEP_3)
	v_fma_f32 v20, v20, 2.0, -v16
	v_fmac_f32_e32 v26, v18, v104
	s_delay_alu instid0(VALU_DEP_1) | instskip(SKIP_1) | instid1(VALU_DEP_1)
	v_sub_f32_e32 v26, v31, v26
	v_mul_f32_e32 v19, v19, v104
	v_fma_f32 v17, v18, v105, -v19
	v_mul_f32_e32 v18, v7, v109
	v_mul_f32_e32 v7, v7, v108
	s_delay_alu instid0(VALU_DEP_2) | instskip(NEXT) | instid1(VALU_DEP_2)
	v_fmac_f32_e32 v18, v6, v108
	v_fma_f32 v6, v6, v109, -v7
	s_delay_alu instid0(VALU_DEP_1) | instskip(NEXT) | instid1(VALU_DEP_3)
	v_sub_f32_e32 v6, v9, v6
	v_sub_f32_e32 v18, v23, v18
	s_delay_alu instid0(VALU_DEP_2) | instskip(NEXT) | instid1(VALU_DEP_2)
	v_fma_f32 v9, v9, 2.0, -v6
	v_fma_f32 v23, v23, 2.0, -v18
	v_sub_f32_e32 v18, v25, v18
	s_delay_alu instid0(VALU_DEP_1) | instskip(SKIP_3) | instid1(VALU_DEP_3)
	v_fma_f32 v25, v25, 2.0, -v18
	v_sub_f32_e32 v7, v12, v30
	v_fma_f32 v30, v31, 2.0, -v26
	v_sub_f32_e32 v26, v2, v26
	v_fma_f32 v12, v12, 2.0, -v7
	s_delay_alu instid0(VALU_DEP_2) | instskip(SKIP_2) | instid1(VALU_DEP_4)
	v_fma_f32 v2, v2, 2.0, -v26
	v_mul_f32_e32 v19, v142, v110
	v_fmamk_f32 v86, v18, 0x3f3504f3, v26
	v_dual_sub_f32 v17, v22, v17 :: v_dual_sub_f32 v30, v12, v30
	s_delay_alu instid0(VALU_DEP_4) | instskip(NEXT) | instid1(VALU_DEP_4)
	v_fmamk_f32 v82, v25, 0xbf3504f3, v2
	v_fma_f32 v19, v141, v111, -v19
	s_delay_alu instid0(VALU_DEP_3) | instskip(NEXT) | instid1(VALU_DEP_4)
	v_fma_f32 v22, v22, 2.0, -v17
	v_fma_f32 v12, v12, 2.0, -v30
	s_delay_alu instid0(VALU_DEP_2) | instskip(NEXT) | instid1(VALU_DEP_1)
	v_dual_sub_f32 v19, v0, v19 :: v_dual_sub_f32 v22, v13, v22
	v_fma_f32 v0, v0, 2.0, -v19
	v_add_f32_e32 v19, v24, v19
	v_sub_f32_e32 v9, v28, v9
	v_sub_f32_e32 v3, v15, v3
	v_fma_f32 v13, v13, 2.0, -v22
	v_sub_f32_e32 v0, v20, v0
	v_fma_f32 v24, v24, 2.0, -v19
	v_dual_add_f32 v84, v30, v9 :: v_dual_mul_f32 v27, v5, v107
	v_add_f32_e32 v6, v3, v6
	v_fma_f32 v15, v15, 2.0, -v3
	v_fma_f32 v28, v28, 2.0, -v9
	;; [unrolled: 1-line block ×3, first 2 shown]
	v_fmac_f32_e32 v27, v4, v106
	v_dual_fmac_f32 v86, 0xbf3504f3, v6 :: v_dual_add_f32 v17, v7, v17
	v_fma_f32 v3, v3, 2.0, -v6
	v_sub_f32_e32 v28, v13, v28
	s_delay_alu instid0(VALU_DEP_3) | instskip(NEXT) | instid1(VALU_DEP_3)
	v_fma_f32 v7, v7, 2.0, -v17
	v_dual_mul_f32 v5, v5, v106 :: v_dual_fmac_f32 v82, 0xbf3504f3, v3
	s_delay_alu instid0(VALU_DEP_3) | instskip(NEXT) | instid1(VALU_DEP_3)
	v_fma_f32 v13, v13, 2.0, -v28
	v_fmamk_f32 v80, v3, 0xbf3504f3, v7
	s_delay_alu instid0(VALU_DEP_3) | instskip(NEXT) | instid1(VALU_DEP_2)
	v_fma_f32 v4, v4, v107, -v5
	v_dual_mul_f32 v5, v142, v111 :: v_dual_fmac_f32 v80, 0x3f3504f3, v25
	s_delay_alu instid0(VALU_DEP_1) | instskip(NEXT) | instid1(VALU_DEP_1)
	v_dual_sub_f32 v4, v8, v4 :: v_dual_fmac_f32 v5, v141, v110
	v_fma_f32 v8, v8, 2.0, -v4
	s_delay_alu instid0(VALU_DEP_1) | instskip(NEXT) | instid1(VALU_DEP_1)
	v_dual_sub_f32 v5, v11, v5 :: v_dual_sub_f32 v8, v14, v8
	v_fma_f32 v11, v11, 2.0, -v5
	v_sub_f32_e32 v5, v16, v5
	v_sub_f32_e32 v23, v15, v23
	s_delay_alu instid0(VALU_DEP_4) | instskip(SKIP_1) | instid1(VALU_DEP_3)
	v_fma_f32 v14, v14, 2.0, -v8
	v_sub_f32_e32 v1, v144, v1
	v_fma_f32 v15, v15, 2.0, -v23
	s_delay_alu instid0(VALU_DEP_3) | instskip(NEXT) | instid1(VALU_DEP_3)
	v_sub_f32_e32 v20, v14, v20
	v_add_f32_e32 v4, v1, v4
	v_fma_f32 v31, v144, 2.0, -v1
	s_delay_alu instid0(VALU_DEP_4)
	v_sub_f32_e32 v81, v12, v15
	v_fma_f32 v15, v16, 2.0, -v5
	v_sub_f32_e32 v27, v21, v27
	v_fma_f32 v1, v1, 2.0, -v4
	v_fma_f32 v16, v7, 2.0, -v80
	;; [unrolled: 1-line block ×5, first 2 shown]
	v_fmamk_f32 v25, v24, 0xbf3504f3, v1
	s_delay_alu instid0(VALU_DEP_2) | instskip(NEXT) | instid1(VALU_DEP_2)
	v_sub_f32_e32 v21, v31, v21
	v_fmac_f32_e32 v25, 0x3f3504f3, v15
	s_delay_alu instid0(VALU_DEP_2) | instskip(NEXT) | instid1(VALU_DEP_2)
	v_fma_f32 v31, v31, 2.0, -v21
	v_fma_f32 v9, v1, 2.0, -v25
	v_sub_f32_e32 v27, v10, v27
	s_delay_alu instid0(VALU_DEP_1) | instskip(SKIP_1) | instid1(VALU_DEP_2)
	v_fmamk_f32 v88, v5, 0x3f3504f3, v27
	v_fma_f32 v10, v10, 2.0, -v27
	v_fmac_f32_e32 v88, 0xbf3504f3, v19
	v_fmamk_f32 v83, v6, 0x3f3504f3, v17
	v_sub_f32_e32 v1, v13, v3
	s_delay_alu instid0(VALU_DEP_2)
	v_fmac_f32_e32 v83, 0x3f3504f3, v18
	v_fma_f32 v18, v30, 2.0, -v84
	v_fmamk_f32 v30, v15, 0xbf3504f3, v10
	v_fma_f32 v15, v26, 2.0, -v86
	v_fmamk_f32 v26, v19, 0x3f3504f3, v4
	v_fma_f32 v17, v17, 2.0, -v83
	s_delay_alu instid0(VALU_DEP_4) | instskip(NEXT) | instid1(VALU_DEP_3)
	v_fmac_f32_e32 v30, 0xbf3504f3, v24
	v_dual_fmac_f32 v26, 0x3f3504f3, v5 :: v_dual_sub_f32 v85, v22, v23
	v_fma_f32 v23, v2, 2.0, -v82
	s_delay_alu instid0(VALU_DEP_3) | instskip(SKIP_1) | instid1(VALU_DEP_4)
	v_fma_f32 v6, v10, 2.0, -v30
	v_sub_f32_e32 v11, v29, v11
	v_fma_f32 v19, v4, 2.0, -v26
	v_fma_f32 v5, v13, 2.0, -v1
	s_delay_alu instid0(VALU_DEP_4) | instskip(NEXT) | instid1(VALU_DEP_4)
	v_fmamk_f32 v3, v6, 0xbf6c835e, v23
	v_fma_f32 v29, v29, 2.0, -v11
	s_delay_alu instid0(VALU_DEP_2) | instskip(NEXT) | instid1(VALU_DEP_2)
	v_fmac_f32_e32 v3, 0xbec3ef15, v9
	v_sub_f32_e32 v29, v31, v29
	s_delay_alu instid0(VALU_DEP_1) | instskip(NEXT) | instid1(VALU_DEP_1)
	v_fma_f32 v2, v31, 2.0, -v29
	v_dual_add_f32 v31, v21, v0 :: v_dual_sub_f32 v0, v12, v2
	v_fmamk_f32 v2, v9, 0xbf6c835e, v16
	s_delay_alu instid0(VALU_DEP_2) | instskip(NEXT) | instid1(VALU_DEP_2)
	v_fma_f32 v4, v12, 2.0, -v0
	v_dual_fmac_f32 v2, 0x3ec3ef15, v6 :: v_dual_sub_f32 v87, v8, v11
	s_delay_alu instid0(VALU_DEP_4) | instskip(SKIP_1) | instid1(VALU_DEP_3)
	v_fma_f32 v11, v21, 2.0, -v31
	v_fma_f32 v21, v27, 2.0, -v88
	;; [unrolled: 1-line block ×3, first 2 shown]
	s_delay_alu instid0(VALU_DEP_4) | instskip(SKIP_3) | instid1(VALU_DEP_3)
	v_fma_f32 v14, v8, 2.0, -v87
	v_fmamk_f32 v8, v19, 0xbec3ef15, v17
	v_fmamk_f32 v6, v11, 0xbf3504f3, v18
	;; [unrolled: 1-line block ×3, first 2 shown]
	v_fmac_f32_e32 v8, 0x3f6c835e, v21
	v_fma_f32 v22, v22, 2.0, -v85
	s_delay_alu instid0(VALU_DEP_4) | instskip(NEXT) | instid1(VALU_DEP_4)
	v_fmac_f32_e32 v6, 0x3f3504f3, v14
	v_fmac_f32_e32 v9, 0xbf6c835e, v19
	v_dual_fmamk_f32 v19, v30, 0x3ec3ef15, v82 :: v_dual_add_f32 v16, v81, v20
	s_delay_alu instid0(VALU_DEP_4) | instskip(NEXT) | instid1(VALU_DEP_4)
	v_fmamk_f32 v7, v14, 0xbf3504f3, v22
	v_fma_f32 v12, v18, 2.0, -v6
	v_fmamk_f32 v18, v25, 0x3ec3ef15, v80
	v_fma_f32 v14, v17, 2.0, -v8
	v_fmac_f32_e32 v19, 0xbf6c835e, v25
	v_fmac_f32_e32 v7, 0xbf3504f3, v11
	v_fma_f32 v11, v23, 2.0, -v3
	v_fmac_f32_e32 v18, 0x3f6c835e, v30
	v_fma_f32 v15, v15, 2.0, -v9
	v_fma_f32 v20, v81, 2.0, -v16
	;; [unrolled: 1-line block ×3, first 2 shown]
	v_dual_fmamk_f32 v22, v31, 0x3f3504f3, v84 :: v_dual_sub_f32 v17, v28, v29
	v_fmamk_f32 v29, v88, 0x3f6c835e, v86
	v_fma_f32 v24, v80, 2.0, -v18
	v_fma_f32 v25, v82, 2.0, -v19
	s_delay_alu instid0(VALU_DEP_4) | instskip(SKIP_3) | instid1(VALU_DEP_3)
	v_fma_f32 v21, v28, 2.0, -v17
	v_fmamk_f32 v28, v26, 0x3f6c835e, v83
	v_dual_fmac_f32 v22, 0x3f3504f3, v87 :: v_dual_fmamk_f32 v23, v87, 0x3f3504f3, v85
	v_fmac_f32_e32 v29, 0xbec3ef15, v26
	v_fmac_f32_e32 v28, 0x3ec3ef15, v88
	s_delay_alu instid0(VALU_DEP_3) | instskip(NEXT) | instid1(VALU_DEP_4)
	v_fma_f32 v26, v84, 2.0, -v22
	v_fmac_f32_e32 v23, 0xbf3504f3, v31
	s_delay_alu instid0(VALU_DEP_4) | instskip(NEXT) | instid1(VALU_DEP_4)
	v_fma_f32 v31, v86, 2.0, -v29
	v_fma_f32 v30, v83, 2.0, -v28
	s_delay_alu instid0(VALU_DEP_3)
	v_fma_f32 v27, v85, 2.0, -v23
	ds_store_2addr_b64 v152, v[4:5], v[10:11] offset1:10
	ds_store_2addr_b64 v152, v[12:13], v[14:15] offset0:20 offset1:30
	ds_store_2addr_b64 v152, v[20:21], v[24:25] offset0:40 offset1:50
	;; [unrolled: 1-line block ×7, first 2 shown]
	v_add_nc_u32_e32 v4, 0x1c00, v149
	global_wb scope:SCOPE_SE
	s_wait_dscnt 0x0
	s_barrier_signal -1
	s_barrier_wait -1
	global_inv scope:SCOPE_SE
	ds_load_2addr_b64 v[8:11], v149 offset1:90
	ds_load_2addr_b64 v[0:3], v113 offset0:104 offset1:224
	ds_load_2addr_b64 v[24:27], v4 offset0:64 offset1:154
	ds_load_2addr_b64 v[20:23], v114 offset0:58 offset1:148
	ds_load_2addr_b64 v[4:7], v112 offset0:52 offset1:142
	ds_load_2addr_b64 v[16:19], v143 offset0:116 offset1:206
	ds_load_2addr_b64 v[12:15], v115 offset0:110 offset1:200
	ds_load_b64 v[30:31], v149 offset:10560
	s_and_saveexec_b32 s1, s0
	s_cbranch_execz .LBB0_23
; %bb.22:
	ds_load_b64 v[28:29], v149 offset:3600
	ds_load_b64 v[96:97], v149 offset:7440
	;; [unrolled: 1-line block ×3, first 2 shown]
.LBB0_23:
	s_wait_alu 0xfffe
	s_or_b32 exec_lo, exec_lo, s1
	s_wait_dscnt 0x5
	v_dual_mul_f32 v80, v41, v3 :: v_dual_mul_f32 v81, v43, v25
	v_mul_f32_e32 v41, v41, v2
	v_mul_f32_e32 v43, v43, v24
	global_wb scope:SCOPE_SE
	s_wait_dscnt 0x0
	v_dual_fmac_f32 v80, v40, v2 :: v_dual_fmac_f32 v81, v42, v24
	v_fma_f32 v3, v40, v3, -v41
	v_mul_f32_e32 v40, v45, v21
	v_mul_f32_e32 v2, v45, v20
	v_fma_f32 v24, v42, v25, -v43
	v_mul_f32_e32 v25, v47, v27
	s_delay_alu instid0(VALU_DEP_4) | instskip(SKIP_2) | instid1(VALU_DEP_4)
	v_dual_mul_f32 v41, v37, v23 :: v_dual_fmac_f32 v40, v44, v20
	v_mul_f32_e32 v20, v47, v26
	v_fma_f32 v21, v44, v21, -v2
	v_dual_fmac_f32 v25, v46, v26 :: v_dual_mul_f32 v26, v39, v17
	s_delay_alu instid0(VALU_DEP_4) | instskip(NEXT) | instid1(VALU_DEP_4)
	v_fmac_f32_e32 v41, v36, v22
	v_fma_f32 v20, v46, v27, -v20
	v_dual_mul_f32 v27, v57, v13 :: v_dual_mul_f32 v42, v55, v31
	s_delay_alu instid0(VALU_DEP_4) | instskip(SKIP_2) | instid1(VALU_DEP_4)
	v_fmac_f32_e32 v26, v38, v16
	v_mul_f32_e32 v2, v37, v22
	v_mul_f32_e32 v22, v39, v16
	v_dual_fmac_f32 v27, v56, v12 :: v_dual_fmac_f32 v42, v54, v30
	s_barrier_signal -1
	s_delay_alu instid0(VALU_DEP_3)
	v_fma_f32 v23, v36, v23, -v2
	v_mul_f32_e32 v2, v57, v12
	v_mul_f32_e32 v12, v59, v18
	v_fma_f32 v22, v38, v17, -v22
	v_mul_f32_e32 v38, v53, v15
	v_sub_f32_e32 v17, v21, v20
	s_barrier_wait -1
	v_fma_f32 v39, v58, v19, -v12
	v_mul_f32_e32 v12, v55, v30
	global_inv scope:SCOPE_SE
	v_fma_f32 v30, v54, v31, -v12
	v_mul_f32_e32 v31, v51, v99
	v_mul_f32_e32 v36, v59, v19
	v_fma_f32 v37, v56, v13, -v2
	v_dual_mul_f32 v2, v53, v14 :: v_dual_add_f32 v13, v8, v80
	s_delay_alu instid0(VALU_DEP_4) | instskip(NEXT) | instid1(VALU_DEP_4)
	v_fmac_f32_e32 v31, v50, v98
	v_fmac_f32_e32 v36, v58, v18
	v_add_f32_e32 v18, v11, v21
	s_delay_alu instid0(VALU_DEP_4) | instskip(SKIP_3) | instid1(VALU_DEP_3)
	v_fma_f32 v43, v52, v15, -v2
	v_dual_mul_f32 v2, v49, v96 :: v_dual_sub_f32 v19, v40, v25
	v_dual_mul_f32 v12, v51, v98 :: v_dual_sub_f32 v15, v80, v81
	v_fmac_f32_e32 v38, v52, v14
	v_fma_f32 v45, v48, v97, -v2
	v_add_f32_e32 v2, v80, v81
	s_delay_alu instid0(VALU_DEP_4)
	v_fma_f32 v46, v50, v99, -v12
	v_add_f32_e32 v12, v3, v24
	v_sub_f32_e32 v14, v3, v24
	v_add_f32_e32 v16, v10, v40
	v_fma_f32 v2, -0.5, v2, v8
	v_add_f32_e32 v8, v13, v81
	v_add_f32_e32 v13, v9, v3
	v_fma_f32 v3, -0.5, v12, v9
	s_delay_alu instid0(VALU_DEP_4) | instskip(NEXT) | instid1(VALU_DEP_3)
	v_fmamk_f32 v12, v14, 0xbf5db3d7, v2
	v_dual_fmac_f32 v2, 0x3f5db3d7, v14 :: v_dual_add_f32 v9, v13, v24
	s_delay_alu instid0(VALU_DEP_3) | instskip(SKIP_3) | instid1(VALU_DEP_4)
	v_dual_add_f32 v14, v40, v25 :: v_dual_fmamk_f32 v13, v15, 0x3f5db3d7, v3
	v_fmac_f32_e32 v3, 0xbf5db3d7, v15
	v_add_f32_e32 v15, v21, v20
	v_mul_f32_e32 v44, v49, v97
	v_fma_f32 v10, -0.5, v14, v10
	v_sub_f32_e32 v24, v41, v26
	s_delay_alu instid0(VALU_DEP_4) | instskip(NEXT) | instid1(VALU_DEP_4)
	v_dual_add_f32 v14, v16, v25 :: v_dual_fmac_f32 v11, -0.5, v15
	v_fmac_f32_e32 v44, v48, v96
	s_delay_alu instid0(VALU_DEP_4) | instskip(SKIP_1) | instid1(VALU_DEP_4)
	v_fmamk_f32 v16, v17, 0xbf5db3d7, v10
	v_dual_fmac_f32 v10, 0x3f5db3d7, v17 :: v_dual_add_f32 v15, v18, v20
	v_dual_add_f32 v18, v41, v26 :: v_dual_fmamk_f32 v17, v19, 0x3f5db3d7, v11
	v_fmac_f32_e32 v11, 0xbf5db3d7, v19
	v_dual_add_f32 v19, v23, v22 :: v_dual_add_f32 v20, v4, v41
	s_delay_alu instid0(VALU_DEP_3) | instskip(SKIP_2) | instid1(VALU_DEP_4)
	v_fma_f32 v4, -0.5, v18, v4
	v_sub_f32_e32 v21, v23, v22
	v_add_f32_e32 v23, v5, v23
	v_fma_f32 v5, -0.5, v19, v5
	v_add_f32_e32 v18, v20, v26
	v_sub_f32_e32 v26, v27, v36
	v_fmamk_f32 v20, v21, 0xbf5db3d7, v4
	v_dual_fmac_f32 v4, 0x3f5db3d7, v21 :: v_dual_add_f32 v19, v23, v22
	v_dual_add_f32 v22, v27, v36 :: v_dual_fmamk_f32 v21, v24, 0x3f5db3d7, v5
	v_add_f32_e32 v23, v6, v27
	v_dual_fmac_f32 v5, 0xbf5db3d7, v24 :: v_dual_add_f32 v24, v37, v39
	v_add_f32_e32 v27, v38, v42
	s_delay_alu instid0(VALU_DEP_4) | instskip(NEXT) | instid1(VALU_DEP_4)
	v_fma_f32 v6, -0.5, v22, v6
	v_dual_sub_f32 v25, v37, v39 :: v_dual_add_f32 v22, v23, v36
	v_dual_add_f32 v23, v7, v37 :: v_dual_add_f32 v36, v0, v38
	v_add_f32_e32 v41, v29, v45
	v_fma_f32 v0, -0.5, v27, v0
	v_sub_f32_e32 v27, v43, v30
	v_dual_fmac_f32 v7, -0.5, v24 :: v_dual_fmamk_f32 v24, v25, 0xbf5db3d7, v6
	v_dual_fmac_f32 v6, 0x3f5db3d7, v25 :: v_dual_add_f32 v37, v43, v30
	v_add_f32_e32 v23, v23, v39
	s_delay_alu instid0(VALU_DEP_3) | instskip(SKIP_4) | instid1(VALU_DEP_2)
	v_fmamk_f32 v25, v26, 0x3f5db3d7, v7
	v_fmac_f32_e32 v7, 0xbf5db3d7, v26
	v_add_f32_e32 v26, v36, v42
	v_dual_add_f32 v36, v1, v43 :: v_dual_fmac_f32 v1, -0.5, v37
	v_dual_sub_f32 v37, v38, v42 :: v_dual_fmamk_f32 v38, v27, 0xbf5db3d7, v0
	v_dual_fmac_f32 v0, 0x3f5db3d7, v27 :: v_dual_add_f32 v27, v36, v30
	v_add_f32_e32 v30, v44, v31
	v_add_f32_e32 v36, v45, v46
	s_delay_alu instid0(VALU_DEP_4) | instskip(SKIP_1) | instid1(VALU_DEP_4)
	v_fmamk_f32 v39, v37, 0x3f5db3d7, v1
	v_fmac_f32_e32 v1, 0xbf5db3d7, v37
	v_dual_add_f32 v37, v28, v44 :: v_dual_fmac_f32 v28, -0.5, v30
	s_delay_alu instid0(VALU_DEP_4) | instskip(SKIP_1) | instid1(VALU_DEP_3)
	v_dual_sub_f32 v40, v45, v46 :: v_dual_fmac_f32 v29, -0.5, v36
	v_sub_f32_e32 v42, v44, v31
	v_add_f32_e32 v30, v37, v31
	s_delay_alu instid0(VALU_DEP_3) | instskip(NEXT) | instid1(VALU_DEP_3)
	v_dual_add_f32 v31, v41, v46 :: v_dual_fmamk_f32 v36, v40, 0xbf5db3d7, v28
	v_dual_fmac_f32 v28, 0x3f5db3d7, v40 :: v_dual_fmamk_f32 v37, v42, 0x3f5db3d7, v29
	v_fmac_f32_e32 v29, 0xbf5db3d7, v42
	ds_store_2addr_b64 v149, v[8:9], v[12:13] offset1:160
	v_add_nc_u32_e32 v8, 0xe00, v149
	ds_store_b64 v149, v[2:3] offset:2560
	ds_store_2addr_b64 v156, v[14:15], v[16:17] offset1:160
	ds_store_b64 v156, v[10:11] offset:2560
	v_add_nc_u32_e32 v2, 0x1c00, v120
	ds_store_2addr_b64 v8, v[18:19], v[20:21] offset0:52 offset1:212
	ds_store_b64 v149, v[4:5] offset:6560
	ds_store_2addr_b64 v155, v[22:23], v[24:25] offset1:160
	ds_store_b64 v155, v[6:7] offset:2560
	ds_store_2addr_b64 v2, v[26:27], v[38:39] offset0:64 offset1:224
	ds_store_b64 v120, v[0:1] offset:10240
	s_and_saveexec_b32 s1, s0
	s_cbranch_execz .LBB0_25
; %bb.24:
	v_lshlrev_b32_e32 v0, 3, v154
	s_delay_alu instid0(VALU_DEP_1)
	v_add_nc_u32_e32 v1, 0x1c00, v0
	ds_store_2addr_b64 v1, v[30:31], v[36:37] offset0:64 offset1:224
	ds_store_b64 v0, v[28:29] offset:10240
.LBB0_25:
	s_wait_alu 0xfffe
	s_or_b32 exec_lo, exec_lo, s1
	v_add_nc_u32_e32 v8, 0x1c00, v149
	v_add_nc_u32_e32 v0, 0x800, v149
	;; [unrolled: 1-line block ×6, first 2 shown]
	global_wb scope:SCOPE_SE
	s_wait_dscnt 0x0
	s_barrier_signal -1
	s_barrier_wait -1
	global_inv scope:SCOPE_SE
	ds_load_2addr_b64 v[4:7], v149 offset1:90
	ds_load_2addr_b64 v[0:3], v0 offset0:104 offset1:224
	ds_load_2addr_b64 v[24:27], v8 offset0:64 offset1:154
	;; [unrolled: 1-line block ×6, first 2 shown]
	ds_load_b64 v[38:39], v149 offset:10560
	s_and_saveexec_b32 s1, s0
	s_cbranch_execz .LBB0_27
; %bb.26:
	ds_load_b64 v[30:31], v149 offset:3600
	ds_load_b64 v[36:37], v149 offset:7440
	;; [unrolled: 1-line block ×3, first 2 shown]
.LBB0_27:
	s_wait_alu 0xfffe
	s_or_b32 exec_lo, exec_lo, s1
	s_wait_dscnt 0x5
	v_dual_mul_f32 v44, v65, v3 :: v_dual_mul_f32 v47, v67, v24
	v_dual_mul_f32 v45, v65, v2 :: v_dual_mul_f32 v46, v67, v25
	s_wait_dscnt 0x1
	v_mul_f32_e32 v50, v69, v15
	s_delay_alu instid0(VALU_DEP_3) | instskip(NEXT) | instid1(VALU_DEP_3)
	v_fmac_f32_e32 v44, v64, v2
	v_fma_f32 v3, v64, v3, -v45
	v_dual_mul_f32 v45, v73, v21 :: v_dual_fmac_f32 v46, v66, v24
	v_fma_f32 v24, v66, v25, -v47
	v_dual_mul_f32 v25, v75, v27 :: v_dual_mul_f32 v2, v73, v20
	s_delay_alu instid0(VALU_DEP_3) | instskip(SKIP_1) | instid1(VALU_DEP_3)
	v_dual_fmac_f32 v45, v72, v20 :: v_dual_mul_f32 v20, v75, v26
	v_mul_f32_e32 v47, v61, v23
	v_dual_fmac_f32 v25, v74, v26 :: v_dual_mul_f32 v26, v63, v17
	s_delay_alu instid0(VALU_DEP_4) | instskip(NEXT) | instid1(VALU_DEP_4)
	v_fma_f32 v21, v72, v21, -v2
	v_fma_f32 v20, v74, v27, -v20
	v_dual_mul_f32 v27, v77, v13 :: v_dual_mul_f32 v48, v79, v19
	s_delay_alu instid0(VALU_DEP_4) | instskip(SKIP_2) | instid1(VALU_DEP_3)
	v_fmac_f32_e32 v26, v62, v16
	v_mul_f32_e32 v2, v61, v22
	s_wait_dscnt 0x0
	v_dual_mul_f32 v52, v71, v39 :: v_dual_fmac_f32 v27, v76, v12
	v_dual_fmac_f32 v47, v60, v22 :: v_dual_mul_f32 v22, v63, v16
	s_delay_alu instid0(VALU_DEP_3)
	v_fma_f32 v23, v60, v23, -v2
	v_mul_f32_e32 v2, v77, v12
	v_mul_f32_e32 v12, v79, v18
	v_fmac_f32_e32 v50, v68, v14
	v_fma_f32 v22, v62, v17, -v22
	v_sub_f32_e32 v17, v21, v20
	v_fma_f32 v49, v76, v13, -v2
	v_dual_mul_f32 v2, v69, v14 :: v_dual_add_f32 v13, v4, v44
	v_sub_f32_e32 v14, v3, v24
	v_add_f32_e32 v16, v6, v45
	s_delay_alu instid0(VALU_DEP_3) | instskip(SKIP_1) | instid1(VALU_DEP_2)
	v_fma_f32 v53, v68, v15, -v2
	v_add_f32_e32 v2, v44, v46
	v_dual_sub_f32 v15, v44, v46 :: v_dual_add_f32 v44, v1, v53
	s_delay_alu instid0(VALU_DEP_2)
	v_fma_f32 v2, -0.5, v2, v4
	v_add_f32_e32 v4, v13, v46
	v_add_f32_e32 v13, v5, v3
	v_fma_f32 v51, v78, v19, -v12
	v_dual_mul_f32 v12, v71, v38 :: v_dual_sub_f32 v19, v45, v25
	v_fmac_f32_e32 v48, v78, v18
	s_delay_alu instid0(VALU_DEP_2) | instskip(SKIP_1) | instid1(VALU_DEP_1)
	v_fma_f32 v39, v70, v39, -v12
	v_add_f32_e32 v12, v3, v24
	v_fma_f32 v3, -0.5, v12, v5
	v_dual_fmamk_f32 v12, v14, 0xbf5db3d7, v2 :: v_dual_add_f32 v5, v13, v24
	v_sub_f32_e32 v24, v47, v26
	v_fmac_f32_e32 v2, 0x3f5db3d7, v14
	s_delay_alu instid0(VALU_DEP_4) | instskip(SKIP_3) | instid1(VALU_DEP_4)
	v_dual_add_f32 v14, v45, v25 :: v_dual_fmamk_f32 v13, v15, 0x3f5db3d7, v3
	v_fmac_f32_e32 v3, 0xbf5db3d7, v15
	v_dual_add_f32 v15, v21, v20 :: v_dual_add_f32 v18, v7, v21
	v_sub_f32_e32 v21, v23, v22
	v_fma_f32 v6, -0.5, v14, v6
	s_delay_alu instid0(VALU_DEP_3) | instskip(SKIP_1) | instid1(VALU_DEP_3)
	v_dual_add_f32 v14, v16, v25 :: v_dual_fmac_f32 v7, -0.5, v15
	v_fmac_f32_e32 v52, v70, v38
	v_dual_add_f32 v15, v18, v20 :: v_dual_fmamk_f32 v16, v17, 0xbf5db3d7, v6
	v_dual_fmac_f32 v6, 0x3f5db3d7, v17 :: v_dual_sub_f32 v25, v49, v51
	v_add_f32_e32 v18, v47, v26
	v_fmamk_f32 v17, v19, 0x3f5db3d7, v7
	v_fmac_f32_e32 v7, 0xbf5db3d7, v19
	v_add_f32_e32 v19, v23, v22
	v_add_f32_e32 v23, v9, v23
	v_add_f32_e32 v20, v8, v47
	v_fma_f32 v8, -0.5, v18, v8
	v_sub_f32_e32 v45, v50, v52
	v_fma_f32 v9, -0.5, v19, v9
	v_add_f32_e32 v19, v23, v22
	v_dual_add_f32 v22, v27, v48 :: v_dual_add_f32 v23, v10, v27
	v_add_f32_e32 v38, v0, v50
	s_delay_alu instid0(VALU_DEP_2) | instskip(NEXT) | instid1(VALU_DEP_3)
	v_fma_f32 v10, -0.5, v22, v10
	v_add_f32_e32 v22, v23, v48
	v_dual_add_f32 v23, v11, v49 :: v_dual_add_f32 v18, v20, v26
	v_sub_f32_e32 v26, v27, v48
	v_fmamk_f32 v20, v21, 0xbf5db3d7, v8
	v_dual_fmac_f32 v8, 0x3f5db3d7, v21 :: v_dual_fmamk_f32 v21, v24, 0x3f5db3d7, v9
	v_dual_fmac_f32 v9, 0xbf5db3d7, v24 :: v_dual_add_f32 v24, v49, v51
	v_add_f32_e32 v27, v50, v52
	v_add_f32_e32 v23, v23, v51
	s_delay_alu instid0(VALU_DEP_3) | instskip(SKIP_1) | instid1(VALU_DEP_4)
	v_dual_fmac_f32 v11, -0.5, v24 :: v_dual_fmamk_f32 v24, v25, 0xbf5db3d7, v10
	v_fmac_f32_e32 v10, 0x3f5db3d7, v25
	v_fma_f32 v0, -0.5, v27, v0
	v_sub_f32_e32 v27, v53, v39
	s_delay_alu instid0(VALU_DEP_4) | instskip(SKIP_1) | instid1(VALU_DEP_1)
	v_fmamk_f32 v25, v26, 0x3f5db3d7, v11
	v_dual_fmac_f32 v11, 0xbf5db3d7, v26 :: v_dual_add_f32 v26, v53, v39
	v_dual_fmac_f32 v1, -0.5, v26 :: v_dual_add_f32 v26, v38, v52
	s_delay_alu instid0(VALU_DEP_4) | instskip(SKIP_2) | instid1(VALU_DEP_4)
	v_fmamk_f32 v38, v27, 0xbf5db3d7, v0
	v_fmac_f32_e32 v0, 0x3f5db3d7, v27
	v_add_f32_e32 v27, v44, v39
	v_fmamk_f32 v39, v45, 0x3f5db3d7, v1
	v_fmac_f32_e32 v1, 0xbf5db3d7, v45
	ds_store_b64 v149, v[12:13] offset:3840
	ds_store_b64 v149, v[2:3] offset:7680
	ds_store_2addr_b64 v149, v[4:5], v[14:15] offset1:90
	ds_store_b64 v149, v[6:7] offset:8400
	ds_store_2addr_b64 v43, v[16:17], v[20:21] offset0:58 offset1:148
	ds_store_2addr_b64 v42, v[18:19], v[22:23] offset0:52 offset1:142
	;; [unrolled: 1-line block ×4, first 2 shown]
	ds_store_b64 v149, v[26:27] offset:2880
	ds_store_b64 v149, v[0:1] offset:10560
	s_and_saveexec_b32 s1, s0
	s_cbranch_execz .LBB0_29
; %bb.28:
	v_dual_mul_f32 v1, v35, v28 :: v_dual_mul_f32 v2, v33, v37
	s_delay_alu instid0(VALU_DEP_1) | instskip(SKIP_1) | instid1(VALU_DEP_1)
	v_fma_f32 v3, v34, v29, -v1
	v_mul_f32_e32 v0, v33, v36
	v_fma_f32 v0, v32, v37, -v0
	s_delay_alu instid0(VALU_DEP_1) | instskip(SKIP_1) | instid1(VALU_DEP_2)
	v_dual_mul_f32 v4, v35, v29 :: v_dual_add_f32 v1, v0, v3
	v_sub_f32_e32 v8, v0, v3
	v_fma_f32 v1, -0.5, v1, v31
	v_fmac_f32_e32 v2, v32, v36
	s_delay_alu instid0(VALU_DEP_4) | instskip(SKIP_1) | instid1(VALU_DEP_2)
	v_fmac_f32_e32 v4, v34, v28
	v_add_f32_e32 v7, v31, v0
	v_sub_f32_e32 v6, v2, v4
	v_add_f32_e32 v5, v2, v4
	s_delay_alu instid0(VALU_DEP_1) | instskip(NEXT) | instid1(VALU_DEP_3)
	v_fma_f32 v0, -0.5, v5, v30
	v_fmamk_f32 v5, v6, 0xbf5db3d7, v1
	v_dual_add_f32 v2, v30, v2 :: v_dual_add_f32 v3, v7, v3
	s_delay_alu instid0(VALU_DEP_1) | instskip(NEXT) | instid1(VALU_DEP_4)
	v_dual_fmac_f32 v1, 0x3f5db3d7, v6 :: v_dual_add_f32 v2, v2, v4
	v_fmamk_f32 v4, v8, 0x3f5db3d7, v0
	v_fmac_f32_e32 v0, 0xbf5db3d7, v8
	ds_store_b64 v149, v[2:3] offset:3600
	ds_store_b64 v149, v[0:1] offset:7440
	;; [unrolled: 1-line block ×3, first 2 shown]
.LBB0_29:
	s_wait_alu 0xfffe
	s_or_b32 exec_lo, exec_lo, s1
	global_wb scope:SCOPE_SE
	s_wait_dscnt 0x0
	s_barrier_signal -1
	s_barrier_wait -1
	global_inv scope:SCOPE_SE
	ds_load_2addr_b64 v[3:6], v149 offset1:144
	v_add_nc_u32_e32 v7, 0x800, v149
	v_add_nc_u32_e32 v11, 0x1000, v149
	;; [unrolled: 1-line block ×4, first 2 shown]
	v_mad_co_u64_u32 v[23:24], null, s4, v119, 0
	v_mad_co_u64_u32 v[0:1], null, s6, v118, 0
	s_mov_b32 s2, 0x16c16c17
	s_mov_b32 s3, 0x3f46c16c
	s_wait_dscnt 0x0
	v_mul_f32_e32 v25, v128, v4
	v_mul_f32_e32 v26, v128, v3
	ds_load_2addr_b64 v[7:10], v7 offset0:32 offset1:176
	ds_load_2addr_b64 v[11:14], v11 offset0:64 offset1:208
	;; [unrolled: 1-line block ×3, first 2 shown]
	v_mul_f32_e32 v27, v126, v6
	v_mul_f32_e32 v31, v126, v5
	v_fmac_f32_e32 v25, v127, v3
	v_fma_f32 v26, v127, v4, -v26
	v_mov_b32_e32 v3, v24
	v_mad_co_u64_u32 v[28:29], null, s7, v118, v[1:2]
	ds_load_2addr_b64 v[19:22], v2 offset1:144
	s_wait_dscnt 0x3
	v_mul_f32_e32 v32, v132, v10
	s_wait_dscnt 0x2
	v_mul_f32_e32 v34, v138, v12
	;; [unrolled: 2-line block ×3, first 2 shown]
	v_dual_mul_f32 v40, v136, v16 :: v_dual_fmac_f32 v27, v125, v5
	v_mul_f32_e32 v36, v140, v14
	v_cvt_f64_f32_e32 v[4:5], v25
	v_cvt_f64_f32_e32 v[24:25], v26
	v_mul_f32_e32 v38, v136, v15
	v_cvt_f64_f32_e32 v[26:27], v27
	v_fma_f32 v1, v125, v6, -v31
	v_dual_mul_f32 v6, v134, v7 :: v_dual_mul_f32 v33, v132, v9
	v_fmac_f32_e32 v34, v137, v11
	v_dual_mul_f32 v35, v138, v11 :: v_dual_fmac_f32 v36, v139, v13
	v_dual_mul_f32 v37, v140, v13 :: v_dual_fmac_f32 v40, v135, v15
	s_delay_alu instid0(VALU_DEP_4) | instskip(NEXT) | instid1(VALU_DEP_3)
	v_fma_f32 v33, v131, v10, -v33
	v_fma_f32 v35, v137, v12, -v35
	v_fmac_f32_e32 v42, v129, v17
	s_wait_dscnt 0x0
	v_mul_f32_e32 v46, v124, v21
	v_fma_f32 v37, v139, v14, -v37
	v_cvt_f64_f32_e32 v[12:13], v33
	v_cvt_f64_f32_e32 v[14:15], v34
	v_fmac_f32_e32 v32, v131, v9
	s_delay_alu instid0(VALU_DEP_1)
	v_cvt_f64_f32_e32 v[10:11], v32
	v_cvt_f64_f32_e32 v[32:33], v35
	;; [unrolled: 1-line block ×4, first 2 shown]
	v_mad_co_u64_u32 v[29:30], null, s5, v119, v[3:4]
	v_cvt_f64_f32_e32 v[30:31], v1
	v_mul_f32_e32 v3, v134, v8
	v_fma_f32 v1, v133, v8, -v6
	s_delay_alu instid0(VALU_DEP_2) | instskip(NEXT) | instid1(VALU_DEP_2)
	v_fmac_f32_e32 v3, v133, v7
	v_cvt_f64_f32_e32 v[8:9], v1
	v_fma_f32 v1, v135, v16, -v38
	s_wait_alu 0xfffe
	v_mul_f64_e32 v[38:39], s[2:3], v[24:25]
	v_mul_f32_e32 v24, v122, v20
	v_cvt_f64_f32_e32 v[6:7], v3
	v_mul_f64_e32 v[3:4], s[2:3], v[4:5]
	v_mul_f32_e32 v5, v130, v17
	v_cvt_f64_f32_e32 v[16:17], v40
	v_fmac_f32_e32 v24, v121, v19
	v_cvt_f64_f32_e32 v[40:41], v1
	v_mul_f64_e32 v[25:26], s[2:3], v[26:27]
	v_fma_f32 v1, v129, v18, -v5
	v_mul_f32_e32 v5, v122, v19
	v_mul_f32_e32 v27, v124, v22
	v_cvt_f64_f32_e32 v[44:45], v24
	v_mov_b32_e32 v24, v29
	v_cvt_f64_f32_e32 v[18:19], v1
	v_fma_f32 v1, v121, v20, -v5
	v_fmac_f32_e32 v27, v123, v21
	v_fma_f32 v5, v123, v22, -v46
	v_cvt_f64_f32_e32 v[42:43], v42
	v_lshlrev_b64_e32 v[22:23], 3, v[23:24]
	s_delay_alu instid0(VALU_DEP_4) | instskip(NEXT) | instid1(VALU_DEP_4)
	v_cvt_f64_f32_e32 v[46:47], v27
	v_cvt_f64_f32_e32 v[48:49], v5
	v_mul_f64_e32 v[20:21], s[2:3], v[30:31]
	v_cvt_f64_f32_e32 v[30:31], v1
	v_mov_b32_e32 v1, v28
	v_mul_f64_e32 v[27:28], s[2:3], v[34:35]
	s_delay_alu instid0(VALU_DEP_2)
	v_lshlrev_b64_e32 v[0:1], 3, v[0:1]
	v_mul_f64_e32 v[5:6], s[2:3], v[6:7]
	v_mul_f64_e32 v[7:8], s[2:3], v[8:9]
	;; [unrolled: 1-line block ×4, first 2 shown]
	v_add_co_u32 v50, s0, s10, v0
	s_wait_alu 0xf1ff
	v_add_co_ci_u32_e64 v51, s0, s11, v1, s0
	v_mul_f64_e32 v[0:1], s[2:3], v[14:15]
	v_mul_f64_e32 v[13:14], s[2:3], v[32:33]
	;; [unrolled: 1-line block ×3, first 2 shown]
	v_cvt_f32_f64_e32 v15, v[25:26]
	v_mul_f64_e32 v[24:25], s[2:3], v[16:17]
	v_mul_f64_e32 v[34:35], s[2:3], v[40:41]
	;; [unrolled: 1-line block ×3, first 2 shown]
	v_cvt_f32_f64_e32 v3, v[3:4]
	v_mul_f64_e32 v[36:37], s[2:3], v[42:43]
	v_cvt_f32_f64_e32 v4, v[38:39]
	v_mul_f64_e32 v[38:39], s[2:3], v[44:45]
	v_add_co_u32 v22, s0, v50, v22
	v_mul_f64_e32 v[40:41], s[2:3], v[48:49]
	s_wait_alu 0xf1ff
	v_add_co_ci_u32_e64 v23, s0, v51, v23, s0
	s_mul_u64 s[0:1], s[4:5], 0x90
	s_wait_alu 0xfffe
	s_lshl_b64 s[6:7], s[0:1], 3
	v_cvt_f32_f64_e32 v16, v[20:21]
	v_mul_f64_e32 v[19:20], s[2:3], v[30:31]
	v_mul_f64_e32 v[29:30], s[2:3], v[46:47]
	s_wait_alu 0xfffe
	v_add_co_u32 v42, s0, v22, s6
	s_wait_alu 0xf1ff
	v_add_co_ci_u32_e64 v43, s0, s7, v23, s0
	v_cvt_f32_f64_e32 v26, v[27:28]
	s_clause 0x1
	global_store_b64 v[22:23], v[3:4], off
	global_store_b64 v[42:43], v[15:16], off
	v_cvt_f32_f64_e32 v5, v[5:6]
	v_cvt_f32_f64_e32 v6, v[7:8]
	v_add_co_u32 v7, s0, v42, s6
	s_wait_alu 0xf1ff
	v_add_co_ci_u32_e64 v8, s0, s7, v43, s0
	v_cvt_f32_f64_e32 v9, v[9:10]
	v_cvt_f32_f64_e32 v10, v[11:12]
	v_add_co_u32 v11, s0, v7, s6
	s_wait_alu 0xf1ff
	v_add_co_ci_u32_e64 v12, s0, s7, v8, s0
	v_cvt_f32_f64_e32 v45, v[13:14]
	s_delay_alu instid0(VALU_DEP_3) | instskip(SKIP_1) | instid1(VALU_DEP_3)
	v_add_co_u32 v13, s0, v11, s6
	s_wait_alu 0xf1ff
	v_add_co_ci_u32_e64 v14, s0, s7, v12, s0
	v_cvt_f32_f64_e32 v27, v[32:33]
	s_delay_alu instid0(VALU_DEP_3)
	v_add_co_u32 v31, s0, v13, s6
	v_cvt_f32_f64_e32 v24, v[24:25]
	v_cvt_f32_f64_e32 v25, v[34:35]
	;; [unrolled: 1-line block ×3, first 2 shown]
	s_wait_alu 0xf1ff
	v_add_co_ci_u32_e64 v32, s0, s7, v14, s0
	v_cvt_f32_f64_e32 v33, v[36:37]
	v_cvt_f32_f64_e32 v34, v[17:18]
	v_mad_co_u64_u32 v[35:36], null, s4, v150, 0
	v_cvt_f32_f64_e32 v17, v[38:39]
	v_cvt_f32_f64_e32 v18, v[19:20]
	;; [unrolled: 1-line block ×4, first 2 shown]
	v_add_co_u32 v28, s0, v31, s6
	s_wait_alu 0xf1ff
	v_add_co_ci_u32_e64 v29, s0, s7, v32, s0
	v_mov_b32_e32 v0, v36
	s_delay_alu instid0(VALU_DEP_3) | instskip(SKIP_1) | instid1(VALU_DEP_3)
	v_add_co_u32 v37, s0, v28, s6
	s_wait_alu 0xf1ff
	v_add_co_ci_u32_e64 v38, s0, s7, v29, s0
	s_delay_alu instid0(VALU_DEP_3)
	v_mad_co_u64_u32 v[39:40], null, s5, v150, v[0:1]
	s_clause 0x2
	global_store_b64 v[7:8], v[5:6], off
	global_store_b64 v[11:12], v[9:10], off
	;; [unrolled: 1-line block ×3, first 2 shown]
	v_mov_b32_e32 v36, v39
	v_mad_co_u64_u32 v[0:1], null, 0x900, s4, v[37:38]
	s_delay_alu instid0(VALU_DEP_2) | instskip(NEXT) | instid1(VALU_DEP_2)
	v_lshlrev_b64_e32 v[3:4], 3, v[35:36]
	v_mad_co_u64_u32 v[15:16], null, 0x900, s5, v[1:2]
	s_delay_alu instid0(VALU_DEP_2) | instskip(SKIP_1) | instid1(VALU_DEP_3)
	v_add_co_u32 v3, s0, v50, v3
	s_wait_alu 0xf1ff
	v_add_co_ci_u32_e64 v4, s0, v51, v4, s0
	s_delay_alu instid0(VALU_DEP_3)
	v_mov_b32_e32 v1, v15
	global_store_b64 v[31:32], v[26:27], off
	global_store_b64 v[28:29], v[24:25], off
	;; [unrolled: 1-line block ×5, first 2 shown]
	s_and_b32 exec_lo, exec_lo, vcc_lo
	s_cbranch_execz .LBB0_31
; %bb.30:
	global_load_b64 v[7:8], v[116:117], off offset:720
	ds_load_2addr_b64 v[3:6], v149 offset0:90 offset1:234
	v_mad_co_u64_u32 v[0:1], null, 0xffffda50, s4, v[0:1]
	s_mul_i32 s0, s5, 0xffffda50
	s_wait_alu 0xfffe
	s_sub_co_i32 s0, s0, s4
	s_wait_alu 0xfffe
	s_delay_alu instid0(VALU_DEP_1) | instskip(SKIP_3) | instid1(VALU_DEP_2)
	v_add_nc_u32_e32 v1, s0, v1
	s_wait_loadcnt_dscnt 0x0
	v_mul_f32_e32 v9, v4, v8
	v_mul_f32_e32 v8, v3, v8
	v_fmac_f32_e32 v9, v3, v7
	s_delay_alu instid0(VALU_DEP_2) | instskip(NEXT) | instid1(VALU_DEP_2)
	v_fma_f32 v7, v7, v4, -v8
	v_cvt_f64_f32_e32 v[3:4], v9
	s_delay_alu instid0(VALU_DEP_2) | instskip(NEXT) | instid1(VALU_DEP_2)
	v_cvt_f64_f32_e32 v[7:8], v7
	v_mul_f64_e32 v[3:4], s[2:3], v[3:4]
	s_delay_alu instid0(VALU_DEP_2) | instskip(NEXT) | instid1(VALU_DEP_2)
	v_mul_f64_e32 v[7:8], s[2:3], v[7:8]
	v_cvt_f32_f64_e32 v3, v[3:4]
	s_delay_alu instid0(VALU_DEP_2)
	v_cvt_f32_f64_e32 v4, v[7:8]
	global_store_b64 v[0:1], v[3:4], off
	global_load_b64 v[3:4], v[116:117], off offset:1872
	v_add_co_u32 v0, vcc_lo, v0, s6
	s_wait_alu 0xfffd
	v_add_co_ci_u32_e32 v1, vcc_lo, s7, v1, vcc_lo
	s_wait_loadcnt 0x0
	v_mul_f32_e32 v7, v6, v4
	v_mul_f32_e32 v4, v5, v4
	s_delay_alu instid0(VALU_DEP_2) | instskip(NEXT) | instid1(VALU_DEP_2)
	v_fmac_f32_e32 v7, v5, v3
	v_fma_f32 v5, v3, v6, -v4
	s_delay_alu instid0(VALU_DEP_2) | instskip(NEXT) | instid1(VALU_DEP_2)
	v_cvt_f64_f32_e32 v[3:4], v7
	v_cvt_f64_f32_e32 v[5:6], v5
	s_delay_alu instid0(VALU_DEP_2) | instskip(NEXT) | instid1(VALU_DEP_2)
	v_mul_f64_e32 v[3:4], s[2:3], v[3:4]
	v_mul_f64_e32 v[5:6], s[2:3], v[5:6]
	s_delay_alu instid0(VALU_DEP_2) | instskip(NEXT) | instid1(VALU_DEP_2)
	v_cvt_f32_f64_e32 v3, v[3:4]
	v_cvt_f32_f64_e32 v4, v[5:6]
	global_store_b64 v[0:1], v[3:4], off
	global_load_b64 v[7:8], v[116:117], off offset:3024
	v_add_nc_u32_e32 v3, 0xa00, v149
	v_add_co_u32 v0, vcc_lo, v0, s6
	s_wait_alu 0xfffd
	v_add_co_ci_u32_e32 v1, vcc_lo, s7, v1, vcc_lo
	ds_load_2addr_b64 v[3:6], v3 offset0:58 offset1:202
	s_wait_loadcnt_dscnt 0x0
	v_mul_f32_e32 v9, v4, v8
	v_mul_f32_e32 v8, v3, v8
	s_delay_alu instid0(VALU_DEP_2) | instskip(NEXT) | instid1(VALU_DEP_2)
	v_fmac_f32_e32 v9, v3, v7
	v_fma_f32 v7, v7, v4, -v8
	s_delay_alu instid0(VALU_DEP_2) | instskip(NEXT) | instid1(VALU_DEP_2)
	v_cvt_f64_f32_e32 v[3:4], v9
	v_cvt_f64_f32_e32 v[7:8], v7
	s_delay_alu instid0(VALU_DEP_2) | instskip(NEXT) | instid1(VALU_DEP_2)
	v_mul_f64_e32 v[3:4], s[2:3], v[3:4]
	v_mul_f64_e32 v[7:8], s[2:3], v[7:8]
	s_delay_alu instid0(VALU_DEP_2) | instskip(NEXT) | instid1(VALU_DEP_2)
	v_cvt_f32_f64_e32 v3, v[3:4]
	v_cvt_f32_f64_e32 v4, v[7:8]
	global_store_b64 v[0:1], v[3:4], off
	global_load_b64 v[3:4], v[116:117], off offset:4176
	v_add_co_u32 v0, vcc_lo, v0, s6
	s_wait_alu 0xfffd
	v_add_co_ci_u32_e32 v1, vcc_lo, s7, v1, vcc_lo
	s_wait_loadcnt 0x0
	v_mul_f32_e32 v7, v6, v4
	v_mul_f32_e32 v4, v5, v4
	s_delay_alu instid0(VALU_DEP_2) | instskip(NEXT) | instid1(VALU_DEP_2)
	v_fmac_f32_e32 v7, v5, v3
	v_fma_f32 v5, v3, v6, -v4
	s_delay_alu instid0(VALU_DEP_2) | instskip(NEXT) | instid1(VALU_DEP_2)
	v_cvt_f64_f32_e32 v[3:4], v7
	v_cvt_f64_f32_e32 v[5:6], v5
	s_delay_alu instid0(VALU_DEP_2) | instskip(NEXT) | instid1(VALU_DEP_2)
	v_mul_f64_e32 v[3:4], s[2:3], v[3:4]
	v_mul_f64_e32 v[5:6], s[2:3], v[5:6]
	s_delay_alu instid0(VALU_DEP_2) | instskip(NEXT) | instid1(VALU_DEP_2)
	v_cvt_f32_f64_e32 v3, v[3:4]
	v_cvt_f32_f64_e32 v4, v[5:6]
	global_store_b64 v[0:1], v[3:4], off
	global_load_b64 v[7:8], v[116:117], off offset:5328
	v_add_nc_u32_e32 v3, 0x1400, v149
	v_add_co_u32 v0, vcc_lo, v0, s6
	s_wait_alu 0xfffd
	v_add_co_ci_u32_e32 v1, vcc_lo, s7, v1, vcc_lo
	ds_load_2addr_b64 v[3:6], v3 offset0:26 offset1:170
	s_wait_loadcnt_dscnt 0x0
	v_mul_f32_e32 v9, v4, v8
	v_mul_f32_e32 v8, v3, v8
	s_delay_alu instid0(VALU_DEP_2) | instskip(NEXT) | instid1(VALU_DEP_2)
	v_fmac_f32_e32 v9, v3, v7
	v_fma_f32 v7, v7, v4, -v8
	s_delay_alu instid0(VALU_DEP_2) | instskip(NEXT) | instid1(VALU_DEP_2)
	v_cvt_f64_f32_e32 v[3:4], v9
	v_cvt_f64_f32_e32 v[7:8], v7
	s_delay_alu instid0(VALU_DEP_2) | instskip(NEXT) | instid1(VALU_DEP_2)
	v_mul_f64_e32 v[3:4], s[2:3], v[3:4]
	v_mul_f64_e32 v[7:8], s[2:3], v[7:8]
	s_delay_alu instid0(VALU_DEP_2) | instskip(NEXT) | instid1(VALU_DEP_2)
	v_cvt_f32_f64_e32 v3, v[3:4]
	;; [unrolled: 42-line block ×3, first 2 shown]
	v_cvt_f32_f64_e32 v4, v[7:8]
	global_store_b64 v[0:1], v[3:4], off
	global_load_b64 v[3:4], v[116:117], off offset:8784
	s_wait_loadcnt 0x0
	v_mul_f32_e32 v7, v6, v4
	v_mul_f32_e32 v4, v5, v4
	s_delay_alu instid0(VALU_DEP_2) | instskip(NEXT) | instid1(VALU_DEP_2)
	v_fmac_f32_e32 v7, v5, v3
	v_fma_f32 v5, v3, v6, -v4
	s_delay_alu instid0(VALU_DEP_2) | instskip(NEXT) | instid1(VALU_DEP_2)
	v_cvt_f64_f32_e32 v[3:4], v7
	v_cvt_f64_f32_e32 v[5:6], v5
	s_delay_alu instid0(VALU_DEP_2) | instskip(NEXT) | instid1(VALU_DEP_2)
	v_mul_f64_e32 v[3:4], s[2:3], v[3:4]
	v_mul_f64_e32 v[5:6], s[2:3], v[5:6]
	s_delay_alu instid0(VALU_DEP_2) | instskip(NEXT) | instid1(VALU_DEP_2)
	v_cvt_f32_f64_e32 v3, v[3:4]
	v_cvt_f32_f64_e32 v4, v[5:6]
	v_add_co_u32 v5, vcc_lo, v0, s6
	s_wait_alu 0xfffd
	v_add_co_ci_u32_e32 v6, vcc_lo, s7, v1, vcc_lo
	global_store_b64 v[5:6], v[3:4], off
	global_load_b64 v[7:8], v[116:117], off offset:9936
	ds_load_2addr_b64 v[0:3], v2 offset0:90 offset1:234
	s_wait_loadcnt_dscnt 0x0
	v_mul_f32_e32 v4, v1, v8
	v_mul_f32_e32 v8, v0, v8
	s_delay_alu instid0(VALU_DEP_2) | instskip(NEXT) | instid1(VALU_DEP_2)
	v_fmac_f32_e32 v4, v0, v7
	v_fma_f32 v7, v7, v1, -v8
	s_delay_alu instid0(VALU_DEP_2) | instskip(NEXT) | instid1(VALU_DEP_2)
	v_cvt_f64_f32_e32 v[0:1], v4
	v_cvt_f64_f32_e32 v[7:8], v7
	v_add_co_u32 v4, vcc_lo, v5, s6
	s_wait_alu 0xfffd
	v_add_co_ci_u32_e32 v5, vcc_lo, s7, v6, vcc_lo
	s_delay_alu instid0(VALU_DEP_4) | instskip(NEXT) | instid1(VALU_DEP_4)
	v_mul_f64_e32 v[0:1], s[2:3], v[0:1]
	v_mul_f64_e32 v[7:8], s[2:3], v[7:8]
	s_delay_alu instid0(VALU_DEP_2) | instskip(NEXT) | instid1(VALU_DEP_2)
	v_cvt_f32_f64_e32 v0, v[0:1]
	v_cvt_f32_f64_e32 v1, v[7:8]
	global_store_b64 v[4:5], v[0:1], off
	global_load_b64 v[0:1], v[116:117], off offset:11088
	s_wait_loadcnt 0x0
	v_mul_f32_e32 v6, v3, v1
	v_mul_f32_e32 v1, v2, v1
	s_delay_alu instid0(VALU_DEP_2) | instskip(NEXT) | instid1(VALU_DEP_2)
	v_fmac_f32_e32 v6, v2, v0
	v_fma_f32 v2, v0, v3, -v1
	s_delay_alu instid0(VALU_DEP_2) | instskip(NEXT) | instid1(VALU_DEP_2)
	v_cvt_f64_f32_e32 v[0:1], v6
	v_cvt_f64_f32_e32 v[2:3], v2
	s_delay_alu instid0(VALU_DEP_2) | instskip(NEXT) | instid1(VALU_DEP_2)
	v_mul_f64_e32 v[0:1], s[2:3], v[0:1]
	v_mul_f64_e32 v[2:3], s[2:3], v[2:3]
	s_delay_alu instid0(VALU_DEP_2) | instskip(NEXT) | instid1(VALU_DEP_2)
	v_cvt_f32_f64_e32 v0, v[0:1]
	v_cvt_f32_f64_e32 v1, v[2:3]
	v_add_co_u32 v2, vcc_lo, v4, s6
	s_wait_alu 0xfffd
	v_add_co_ci_u32_e32 v3, vcc_lo, s7, v5, vcc_lo
	global_store_b64 v[2:3], v[0:1], off
.LBB0_31:
	s_nop 0
	s_sendmsg sendmsg(MSG_DEALLOC_VGPRS)
	s_endpgm
	.section	.rodata,"a",@progbits
	.p2align	6, 0x0
	.amdhsa_kernel bluestein_single_fwd_len1440_dim1_sp_op_CI_CI
		.amdhsa_group_segment_fixed_size 11520
		.amdhsa_private_segment_fixed_size 0
		.amdhsa_kernarg_size 104
		.amdhsa_user_sgpr_count 2
		.amdhsa_user_sgpr_dispatch_ptr 0
		.amdhsa_user_sgpr_queue_ptr 0
		.amdhsa_user_sgpr_kernarg_segment_ptr 1
		.amdhsa_user_sgpr_dispatch_id 0
		.amdhsa_user_sgpr_private_segment_size 0
		.amdhsa_wavefront_size32 1
		.amdhsa_uses_dynamic_stack 0
		.amdhsa_enable_private_segment 0
		.amdhsa_system_sgpr_workgroup_id_x 1
		.amdhsa_system_sgpr_workgroup_id_y 0
		.amdhsa_system_sgpr_workgroup_id_z 0
		.amdhsa_system_sgpr_workgroup_info 0
		.amdhsa_system_vgpr_workitem_id 0
		.amdhsa_next_free_vgpr 190
		.amdhsa_next_free_sgpr 18
		.amdhsa_reserve_vcc 1
		.amdhsa_float_round_mode_32 0
		.amdhsa_float_round_mode_16_64 0
		.amdhsa_float_denorm_mode_32 3
		.amdhsa_float_denorm_mode_16_64 3
		.amdhsa_fp16_overflow 0
		.amdhsa_workgroup_processor_mode 1
		.amdhsa_memory_ordered 1
		.amdhsa_forward_progress 0
		.amdhsa_round_robin_scheduling 0
		.amdhsa_exception_fp_ieee_invalid_op 0
		.amdhsa_exception_fp_denorm_src 0
		.amdhsa_exception_fp_ieee_div_zero 0
		.amdhsa_exception_fp_ieee_overflow 0
		.amdhsa_exception_fp_ieee_underflow 0
		.amdhsa_exception_fp_ieee_inexact 0
		.amdhsa_exception_int_div_zero 0
	.end_amdhsa_kernel
	.text
.Lfunc_end0:
	.size	bluestein_single_fwd_len1440_dim1_sp_op_CI_CI, .Lfunc_end0-bluestein_single_fwd_len1440_dim1_sp_op_CI_CI
                                        ; -- End function
	.section	.AMDGPU.csdata,"",@progbits
; Kernel info:
; codeLenInByte = 18432
; NumSgprs: 20
; NumVgprs: 190
; ScratchSize: 0
; MemoryBound: 0
; FloatMode: 240
; IeeeMode: 1
; LDSByteSize: 11520 bytes/workgroup (compile time only)
; SGPRBlocks: 2
; VGPRBlocks: 23
; NumSGPRsForWavesPerEU: 20
; NumVGPRsForWavesPerEU: 190
; Occupancy: 8
; WaveLimiterHint : 1
; COMPUTE_PGM_RSRC2:SCRATCH_EN: 0
; COMPUTE_PGM_RSRC2:USER_SGPR: 2
; COMPUTE_PGM_RSRC2:TRAP_HANDLER: 0
; COMPUTE_PGM_RSRC2:TGID_X_EN: 1
; COMPUTE_PGM_RSRC2:TGID_Y_EN: 0
; COMPUTE_PGM_RSRC2:TGID_Z_EN: 0
; COMPUTE_PGM_RSRC2:TIDIG_COMP_CNT: 0
	.text
	.p2alignl 7, 3214868480
	.fill 96, 4, 3214868480
	.type	__hip_cuid_8e94727dae450d01,@object ; @__hip_cuid_8e94727dae450d01
	.section	.bss,"aw",@nobits
	.globl	__hip_cuid_8e94727dae450d01
__hip_cuid_8e94727dae450d01:
	.byte	0                               ; 0x0
	.size	__hip_cuid_8e94727dae450d01, 1

	.ident	"AMD clang version 19.0.0git (https://github.com/RadeonOpenCompute/llvm-project roc-6.4.0 25133 c7fe45cf4b819c5991fe208aaa96edf142730f1d)"
	.section	".note.GNU-stack","",@progbits
	.addrsig
	.addrsig_sym __hip_cuid_8e94727dae450d01
	.amdgpu_metadata
---
amdhsa.kernels:
  - .args:
      - .actual_access:  read_only
        .address_space:  global
        .offset:         0
        .size:           8
        .value_kind:     global_buffer
      - .actual_access:  read_only
        .address_space:  global
        .offset:         8
        .size:           8
        .value_kind:     global_buffer
      - .actual_access:  read_only
        .address_space:  global
        .offset:         16
        .size:           8
        .value_kind:     global_buffer
      - .actual_access:  read_only
        .address_space:  global
        .offset:         24
        .size:           8
        .value_kind:     global_buffer
      - .actual_access:  read_only
        .address_space:  global
        .offset:         32
        .size:           8
        .value_kind:     global_buffer
      - .offset:         40
        .size:           8
        .value_kind:     by_value
      - .address_space:  global
        .offset:         48
        .size:           8
        .value_kind:     global_buffer
      - .address_space:  global
        .offset:         56
        .size:           8
        .value_kind:     global_buffer
      - .address_space:  global
        .offset:         64
        .size:           8
        .value_kind:     global_buffer
      - .address_space:  global
        .offset:         72
        .size:           8
        .value_kind:     global_buffer
      - .offset:         80
        .size:           4
        .value_kind:     by_value
      - .address_space:  global
        .offset:         88
        .size:           8
        .value_kind:     global_buffer
      - .address_space:  global
        .offset:         96
        .size:           8
        .value_kind:     global_buffer
    .group_segment_fixed_size: 11520
    .kernarg_segment_align: 8
    .kernarg_segment_size: 104
    .language:       OpenCL C
    .language_version:
      - 2
      - 0
    .max_flat_workgroup_size: 90
    .name:           bluestein_single_fwd_len1440_dim1_sp_op_CI_CI
    .private_segment_fixed_size: 0
    .sgpr_count:     20
    .sgpr_spill_count: 0
    .symbol:         bluestein_single_fwd_len1440_dim1_sp_op_CI_CI.kd
    .uniform_work_group_size: 1
    .uses_dynamic_stack: false
    .vgpr_count:     190
    .vgpr_spill_count: 0
    .wavefront_size: 32
    .workgroup_processor_mode: 1
amdhsa.target:   amdgcn-amd-amdhsa--gfx1201
amdhsa.version:
  - 1
  - 2
...

	.end_amdgpu_metadata
